;; amdgpu-corpus repo=ROCm/rocFFT kind=compiled arch=gfx1030 opt=O3
	.text
	.amdgcn_target "amdgcn-amd-amdhsa--gfx1030"
	.amdhsa_code_object_version 6
	.protected	fft_rtc_fwd_len1377_factors_17_3_9_3_wgs_51_tpt_51_halfLds_sp_ip_CI_unitstride_sbrr_dirReg ; -- Begin function fft_rtc_fwd_len1377_factors_17_3_9_3_wgs_51_tpt_51_halfLds_sp_ip_CI_unitstride_sbrr_dirReg
	.globl	fft_rtc_fwd_len1377_factors_17_3_9_3_wgs_51_tpt_51_halfLds_sp_ip_CI_unitstride_sbrr_dirReg
	.p2align	8
	.type	fft_rtc_fwd_len1377_factors_17_3_9_3_wgs_51_tpt_51_halfLds_sp_ip_CI_unitstride_sbrr_dirReg,@function
fft_rtc_fwd_len1377_factors_17_3_9_3_wgs_51_tpt_51_halfLds_sp_ip_CI_unitstride_sbrr_dirReg: ; @fft_rtc_fwd_len1377_factors_17_3_9_3_wgs_51_tpt_51_halfLds_sp_ip_CI_unitstride_sbrr_dirReg
; %bb.0:
	s_clause 0x2
	s_load_dwordx4 s[8:11], s[4:5], 0x0
	s_load_dwordx2 s[2:3], s[4:5], 0x50
	s_load_dwordx2 s[12:13], s[4:5], 0x18
	v_mul_u32_u24_e32 v1, 0x506, v0
	v_mov_b32_e32 v3, 0
	v_add_nc_u32_sdwa v5, s6, v1 dst_sel:DWORD dst_unused:UNUSED_PAD src0_sel:DWORD src1_sel:WORD_1
	v_mov_b32_e32 v1, 0
	v_mov_b32_e32 v6, v3
	v_mov_b32_e32 v2, 0
	s_waitcnt lgkmcnt(0)
	v_cmp_lt_u64_e64 s0, s[10:11], 2
	s_and_b32 vcc_lo, exec_lo, s0
	s_cbranch_vccnz .LBB0_8
; %bb.1:
	s_load_dwordx2 s[0:1], s[4:5], 0x10
	v_mov_b32_e32 v1, 0
	s_add_u32 s6, s12, 8
	v_mov_b32_e32 v2, 0
	s_addc_u32 s7, s13, 0
	s_mov_b64 s[16:17], 1
	s_waitcnt lgkmcnt(0)
	s_add_u32 s14, s0, 8
	s_addc_u32 s15, s1, 0
.LBB0_2:                                ; =>This Inner Loop Header: Depth=1
	s_load_dwordx2 s[18:19], s[14:15], 0x0
                                        ; implicit-def: $vgpr7_vgpr8
	s_mov_b32 s0, exec_lo
	s_waitcnt lgkmcnt(0)
	v_or_b32_e32 v4, s19, v6
	v_cmpx_ne_u64_e32 0, v[3:4]
	s_xor_b32 s1, exec_lo, s0
	s_cbranch_execz .LBB0_4
; %bb.3:                                ;   in Loop: Header=BB0_2 Depth=1
	v_cvt_f32_u32_e32 v4, s18
	v_cvt_f32_u32_e32 v7, s19
	s_sub_u32 s0, 0, s18
	s_subb_u32 s20, 0, s19
	v_fmac_f32_e32 v4, 0x4f800000, v7
	v_rcp_f32_e32 v4, v4
	v_mul_f32_e32 v4, 0x5f7ffffc, v4
	v_mul_f32_e32 v7, 0x2f800000, v4
	v_trunc_f32_e32 v7, v7
	v_fmac_f32_e32 v4, 0xcf800000, v7
	v_cvt_u32_f32_e32 v7, v7
	v_cvt_u32_f32_e32 v4, v4
	v_mul_lo_u32 v8, s0, v7
	v_mul_hi_u32 v9, s0, v4
	v_mul_lo_u32 v10, s20, v4
	v_add_nc_u32_e32 v8, v9, v8
	v_mul_lo_u32 v9, s0, v4
	v_add_nc_u32_e32 v8, v8, v10
	v_mul_hi_u32 v10, v4, v9
	v_mul_lo_u32 v11, v4, v8
	v_mul_hi_u32 v12, v4, v8
	v_mul_hi_u32 v13, v7, v9
	v_mul_lo_u32 v9, v7, v9
	v_mul_hi_u32 v14, v7, v8
	v_mul_lo_u32 v8, v7, v8
	v_add_co_u32 v10, vcc_lo, v10, v11
	v_add_co_ci_u32_e32 v11, vcc_lo, 0, v12, vcc_lo
	v_add_co_u32 v9, vcc_lo, v10, v9
	v_add_co_ci_u32_e32 v9, vcc_lo, v11, v13, vcc_lo
	v_add_co_ci_u32_e32 v10, vcc_lo, 0, v14, vcc_lo
	v_add_co_u32 v8, vcc_lo, v9, v8
	v_add_co_ci_u32_e32 v9, vcc_lo, 0, v10, vcc_lo
	v_add_co_u32 v4, vcc_lo, v4, v8
	v_add_co_ci_u32_e32 v7, vcc_lo, v7, v9, vcc_lo
	v_mul_hi_u32 v8, s0, v4
	v_mul_lo_u32 v10, s20, v4
	v_mul_lo_u32 v9, s0, v7
	v_add_nc_u32_e32 v8, v8, v9
	v_mul_lo_u32 v9, s0, v4
	v_add_nc_u32_e32 v8, v8, v10
	v_mul_hi_u32 v10, v4, v9
	v_mul_lo_u32 v11, v4, v8
	v_mul_hi_u32 v12, v4, v8
	v_mul_hi_u32 v13, v7, v9
	v_mul_lo_u32 v9, v7, v9
	v_mul_hi_u32 v14, v7, v8
	v_mul_lo_u32 v8, v7, v8
	v_add_co_u32 v10, vcc_lo, v10, v11
	v_add_co_ci_u32_e32 v11, vcc_lo, 0, v12, vcc_lo
	v_add_co_u32 v9, vcc_lo, v10, v9
	v_add_co_ci_u32_e32 v9, vcc_lo, v11, v13, vcc_lo
	v_add_co_ci_u32_e32 v10, vcc_lo, 0, v14, vcc_lo
	v_add_co_u32 v8, vcc_lo, v9, v8
	v_add_co_ci_u32_e32 v9, vcc_lo, 0, v10, vcc_lo
	v_add_co_u32 v4, vcc_lo, v4, v8
	v_add_co_ci_u32_e32 v11, vcc_lo, v7, v9, vcc_lo
	v_mul_hi_u32 v13, v5, v4
	v_mad_u64_u32 v[9:10], null, v6, v4, 0
	v_mad_u64_u32 v[7:8], null, v5, v11, 0
	;; [unrolled: 1-line block ×3, first 2 shown]
	v_add_co_u32 v4, vcc_lo, v13, v7
	v_add_co_ci_u32_e32 v7, vcc_lo, 0, v8, vcc_lo
	v_add_co_u32 v4, vcc_lo, v4, v9
	v_add_co_ci_u32_e32 v4, vcc_lo, v7, v10, vcc_lo
	v_add_co_ci_u32_e32 v7, vcc_lo, 0, v12, vcc_lo
	v_add_co_u32 v4, vcc_lo, v4, v11
	v_add_co_ci_u32_e32 v9, vcc_lo, 0, v7, vcc_lo
	v_mul_lo_u32 v10, s19, v4
	v_mad_u64_u32 v[7:8], null, s18, v4, 0
	v_mul_lo_u32 v11, s18, v9
	v_sub_co_u32 v7, vcc_lo, v5, v7
	v_add3_u32 v8, v8, v11, v10
	v_sub_nc_u32_e32 v10, v6, v8
	v_subrev_co_ci_u32_e64 v10, s0, s19, v10, vcc_lo
	v_add_co_u32 v11, s0, v4, 2
	v_add_co_ci_u32_e64 v12, s0, 0, v9, s0
	v_sub_co_u32 v13, s0, v7, s18
	v_sub_co_ci_u32_e32 v8, vcc_lo, v6, v8, vcc_lo
	v_subrev_co_ci_u32_e64 v10, s0, 0, v10, s0
	v_cmp_le_u32_e32 vcc_lo, s18, v13
	v_cmp_eq_u32_e64 s0, s19, v8
	v_cndmask_b32_e64 v13, 0, -1, vcc_lo
	v_cmp_le_u32_e32 vcc_lo, s19, v10
	v_cndmask_b32_e64 v14, 0, -1, vcc_lo
	v_cmp_le_u32_e32 vcc_lo, s18, v7
	;; [unrolled: 2-line block ×3, first 2 shown]
	v_cndmask_b32_e64 v15, 0, -1, vcc_lo
	v_cmp_eq_u32_e32 vcc_lo, s19, v10
	v_cndmask_b32_e64 v7, v15, v7, s0
	v_cndmask_b32_e32 v10, v14, v13, vcc_lo
	v_add_co_u32 v13, vcc_lo, v4, 1
	v_add_co_ci_u32_e32 v14, vcc_lo, 0, v9, vcc_lo
	v_cmp_ne_u32_e32 vcc_lo, 0, v10
	v_cndmask_b32_e32 v8, v14, v12, vcc_lo
	v_cndmask_b32_e32 v10, v13, v11, vcc_lo
	v_cmp_ne_u32_e32 vcc_lo, 0, v7
	v_cndmask_b32_e32 v8, v9, v8, vcc_lo
	v_cndmask_b32_e32 v7, v4, v10, vcc_lo
.LBB0_4:                                ;   in Loop: Header=BB0_2 Depth=1
	s_andn2_saveexec_b32 s0, s1
	s_cbranch_execz .LBB0_6
; %bb.5:                                ;   in Loop: Header=BB0_2 Depth=1
	v_cvt_f32_u32_e32 v4, s18
	s_sub_i32 s1, 0, s18
	v_rcp_iflag_f32_e32 v4, v4
	v_mul_f32_e32 v4, 0x4f7ffffe, v4
	v_cvt_u32_f32_e32 v4, v4
	v_mul_lo_u32 v7, s1, v4
	v_mul_hi_u32 v7, v4, v7
	v_add_nc_u32_e32 v4, v4, v7
	v_mul_hi_u32 v4, v5, v4
	v_mul_lo_u32 v7, v4, s18
	v_add_nc_u32_e32 v8, 1, v4
	v_sub_nc_u32_e32 v7, v5, v7
	v_subrev_nc_u32_e32 v9, s18, v7
	v_cmp_le_u32_e32 vcc_lo, s18, v7
	v_cndmask_b32_e32 v7, v7, v9, vcc_lo
	v_cndmask_b32_e32 v4, v4, v8, vcc_lo
	v_cmp_le_u32_e32 vcc_lo, s18, v7
	v_add_nc_u32_e32 v8, 1, v4
	v_cndmask_b32_e32 v7, v4, v8, vcc_lo
	v_mov_b32_e32 v8, v3
.LBB0_6:                                ;   in Loop: Header=BB0_2 Depth=1
	s_or_b32 exec_lo, exec_lo, s0
	s_load_dwordx2 s[0:1], s[6:7], 0x0
	v_mul_lo_u32 v4, v8, s18
	v_mul_lo_u32 v11, v7, s19
	v_mad_u64_u32 v[9:10], null, v7, s18, 0
	s_add_u32 s16, s16, 1
	s_addc_u32 s17, s17, 0
	s_add_u32 s6, s6, 8
	s_addc_u32 s7, s7, 0
	;; [unrolled: 2-line block ×3, first 2 shown]
	v_add3_u32 v4, v10, v11, v4
	v_sub_co_u32 v5, vcc_lo, v5, v9
	v_sub_co_ci_u32_e32 v4, vcc_lo, v6, v4, vcc_lo
	s_waitcnt lgkmcnt(0)
	v_mul_lo_u32 v6, s1, v5
	v_mul_lo_u32 v4, s0, v4
	v_mad_u64_u32 v[1:2], null, s0, v5, v[1:2]
	v_cmp_ge_u64_e64 s0, s[16:17], s[10:11]
	s_and_b32 vcc_lo, exec_lo, s0
	v_add3_u32 v2, v6, v2, v4
	s_cbranch_vccnz .LBB0_9
; %bb.7:                                ;   in Loop: Header=BB0_2 Depth=1
	v_mov_b32_e32 v5, v7
	v_mov_b32_e32 v6, v8
	s_branch .LBB0_2
.LBB0_8:
	v_mov_b32_e32 v8, v6
	v_mov_b32_e32 v7, v5
.LBB0_9:
	s_lshl_b64 s[0:1], s[10:11], 3
	v_mul_hi_u32 v3, 0x5050506, v0
	s_add_u32 s0, s12, s0
	s_addc_u32 s1, s13, s1
	v_mov_b32_e32 v25, 0
	s_load_dwordx2 s[0:1], s[0:1], 0x0
	s_load_dwordx2 s[4:5], s[4:5], 0x20
                                        ; implicit-def: $vgpr61
                                        ; implicit-def: $vgpr71
                                        ; implicit-def: $vgpr65
                                        ; implicit-def: $vgpr59
                                        ; implicit-def: $vgpr55
                                        ; implicit-def: $vgpr51
                                        ; implicit-def: $vgpr47
                                        ; implicit-def: $vgpr43
                                        ; implicit-def: $vgpr39
                                        ; implicit-def: $vgpr41
                                        ; implicit-def: $vgpr45
                                        ; implicit-def: $vgpr49
                                        ; implicit-def: $vgpr53
                                        ; implicit-def: $vgpr57
                                        ; implicit-def: $vgpr37
                                        ; implicit-def: $vgpr35
                                        ; implicit-def: $vgpr27
                                        ; implicit-def: $vgpr21
                                        ; implicit-def: $vgpr17
                                        ; implicit-def: $vgpr13
                                        ; implicit-def: $vgpr9
                                        ; implicit-def: $vgpr31
                                        ; implicit-def: $vgpr33
                                        ; implicit-def: $vgpr29
                                        ; implicit-def: $vgpr23
                                        ; implicit-def: $vgpr19
                                        ; implicit-def: $vgpr15
                                        ; implicit-def: $vgpr11
                                        ; implicit-def: $vgpr67
                                        ; implicit-def: $vgpr69
                                        ; implicit-def: $vgpr63
	v_mul_u32_u24_e32 v3, 51, v3
	s_waitcnt lgkmcnt(0)
	v_mul_lo_u32 v4, s0, v8
	v_mul_lo_u32 v5, s1, v7
	v_mad_u64_u32 v[1:2], null, s0, v7, v[1:2]
	v_cmp_gt_u64_e32 vcc_lo, s[4:5], v[7:8]
	v_add3_u32 v2, v5, v2, v4
	v_sub_nc_u32_e32 v4, v0, v3
	v_mov_b32_e32 v5, 0
                                        ; implicit-def: $vgpr3
	v_lshlrev_b64 v[6:7], 3, v[1:2]
                                        ; implicit-def: $vgpr1
	s_and_saveexec_b32 s1, vcc_lo
	s_cbranch_execz .LBB0_13
; %bb.10:
	v_mov_b32_e32 v5, 0
	v_add_co_u32 v2, s0, s2, v6
	v_add_co_ci_u32_e64 v3, s0, s3, v7, s0
	v_lshlrev_b64 v[0:1], 3, v[4:5]
	v_mov_b32_e32 v25, v5
	s_mov_b32 s4, exec_lo
                                        ; implicit-def: $vgpr10
                                        ; implicit-def: $vgpr14
                                        ; implicit-def: $vgpr18
                                        ; implicit-def: $vgpr22
                                        ; implicit-def: $vgpr28
                                        ; implicit-def: $vgpr32
                                        ; implicit-def: $vgpr30
                                        ; implicit-def: $vgpr8
                                        ; implicit-def: $vgpr12
                                        ; implicit-def: $vgpr16
                                        ; implicit-def: $vgpr20
                                        ; implicit-def: $vgpr26
                                        ; implicit-def: $vgpr34
                                        ; implicit-def: $vgpr36
	v_add_co_u32 v80, s0, v2, v0
	v_add_co_ci_u32_e64 v81, s0, v3, v1, s0
                                        ; implicit-def: $vgpr2
                                        ; implicit-def: $vgpr0
	s_clause 0x3
	global_load_dwordx2 v[60:61], v[80:81], off
	global_load_dwordx2 v[70:71], v[80:81], off offset:648
	global_load_dwordx2 v[64:65], v[80:81], off offset:1296
	;; [unrolled: 1-line block ×3, first 2 shown]
	v_add_co_u32 v78, s0, 0x800, v80
	v_add_co_ci_u32_e64 v79, s0, 0, v81, s0
	v_add_co_u32 v76, s0, 0x1000, v80
	v_add_co_ci_u32_e64 v77, s0, 0, v81, s0
	;; [unrolled: 2-line block ×4, first 2 shown]
	s_clause 0x7
	global_load_dwordx2 v[54:55], v[78:79], off offset:544
	global_load_dwordx2 v[50:51], v[78:79], off offset:1192
	;; [unrolled: 1-line block ×8, first 2 shown]
	v_add_co_u32 v82, s0, 0x2800, v80
	v_add_co_ci_u32_e64 v83, s0, 0, v81, s0
	s_clause 0x4
	global_load_dwordx2 v[52:53], v[72:73], off offset:1632
	global_load_dwordx2 v[56:57], v[74:75], off offset:232
	;; [unrolled: 1-line block ×5, first 2 shown]
	v_cmpx_gt_u32_e32 30, v4
	s_cbranch_execz .LBB0_12
; %bb.11:
	s_clause 0x10
	global_load_dwordx2 v[24:25], v[80:81], off offset:408
	global_load_dwordx2 v[36:37], v[80:81], off offset:1056
	global_load_dwordx2 v[34:35], v[80:81], off offset:1704
	global_load_dwordx2 v[26:27], v[78:79], off offset:304
	global_load_dwordx2 v[20:21], v[78:79], off offset:952
	global_load_dwordx2 v[16:17], v[78:79], off offset:1600
	global_load_dwordx2 v[12:13], v[76:77], off offset:200
	global_load_dwordx2 v[8:9], v[76:77], off offset:848
	global_load_dwordx2 v[0:1], v[76:77], off offset:1496
	global_load_dwordx2 v[2:3], v[72:73], off offset:96
	global_load_dwordx2 v[10:11], v[72:73], off offset:744
	global_load_dwordx2 v[14:15], v[72:73], off offset:1392
	global_load_dwordx2 v[18:19], v[72:73], off offset:2040
	global_load_dwordx2 v[22:23], v[74:75], off offset:640
	global_load_dwordx2 v[28:29], v[74:75], off offset:1288
	global_load_dwordx2 v[32:33], v[74:75], off offset:1936
	global_load_dwordx2 v[30:31], v[82:83], off offset:536
	s_waitcnt vmcnt(16)
	v_mov_b32_e32 v5, v24
.LBB0_12:
	s_or_b32 exec_lo, exec_lo, s4
.LBB0_13:
	s_or_b32 exec_lo, exec_lo, s1
	s_waitcnt vmcnt(0)
	v_add_f32_e32 v72, v66, v70
	v_sub_f32_e32 v73, v71, v67
	v_add_f32_e32 v74, v68, v64
	v_sub_f32_e32 v75, v65, v69
	v_add_f32_e32 v24, v60, v70
	v_mul_f32_e32 v78, 0x3ee437d1, v72
	v_mul_f32_e32 v77, 0x3f3d2fb0, v72
	;; [unrolled: 1-line block ×5, first 2 shown]
	v_fmamk_f32 v89, v73, 0x3f65296c, v78
	v_fmac_f32_e32 v78, 0xbf65296c, v73
	v_mul_f32_e32 v81, 0xbf1a4643, v72
	v_mul_f32_e32 v84, 0x3dbcf732, v74
	;; [unrolled: 1-line block ×3, first 2 shown]
	v_fmamk_f32 v88, v73, 0x3f2c7751, v77
	v_fmac_f32_e32 v77, 0xbf2c7751, v73
	v_fmamk_f32 v90, v73, 0x3f7ee86f, v79
	v_fmac_f32_e32 v79, 0xbf7ee86f, v73
	;; [unrolled: 2-line block ×3, first 2 shown]
	v_add_f32_e32 v78, v78, v60
	v_mul_f32_e32 v80, 0xbe8c1d8e, v72
	v_mul_f32_e32 v82, 0xbf59a7d5, v72
	;; [unrolled: 1-line block ×4, first 2 shown]
	v_fmamk_f32 v87, v73, 0x3eb8f4ab, v76
	v_fmac_f32_e32 v76, 0xbeb8f4ab, v73
	v_fmamk_f32 v92, v73, 0x3f4c4adb, v81
	v_fmac_f32_e32 v81, 0xbf4c4adb, v73
	;; [unrolled: 2-line block ×3, first 2 shown]
	v_fmamk_f32 v97, v75, 0x3e3c28d5, v86
	v_add_f32_e32 v77, v77, v60
	v_add_f32_e32 v79, v79, v60
	v_fmac_f32_e32 v86, 0xbe3c28d5, v75
	v_add_f32_e32 v78, v78, v85
	v_mul_f32_e32 v85, 0xbe8c1d8e, v74
	v_fmamk_f32 v91, v73, 0x3f763a35, v80
	v_fmac_f32_e32 v80, 0xbf763a35, v73
	v_fmamk_f32 v93, v73, 0x3f06c442, v82
	v_fmac_f32_e32 v82, 0xbf06c442, v73
	v_fmamk_f32 v94, v73, 0x3e3c28d5, v72
	v_fmac_f32_e32 v72, 0xbe3c28d5, v73
	v_fmamk_f32 v73, v75, 0x3f2c7751, v83
	v_fmac_f32_e32 v83, 0xbf2c7751, v75
	v_add_f32_e32 v87, v87, v60
	v_add_f32_e32 v76, v76, v60
	;; [unrolled: 1-line block ×6, first 2 shown]
	v_mul_f32_e32 v84, 0xbf59a7d5, v74
	v_add_f32_e32 v79, v79, v86
	v_fmamk_f32 v86, v75, 0xbf763a35, v85
	v_fmac_f32_e32 v85, 0x3f763a35, v75
	v_add_f32_e32 v90, v90, v60
	v_add_f32_e32 v91, v91, v60
	;; [unrolled: 1-line block ×12, first 2 shown]
	v_fmamk_f32 v88, v75, 0xbf06c442, v84
	v_fmac_f32_e32 v84, 0x3f06c442, v75
	v_mul_f32_e32 v89, 0x3ee437d1, v74
	v_mul_f32_e32 v74, 0x3f6eb680, v74
	v_add_f32_e32 v81, v81, v85
	v_add_f32_e32 v85, v62, v58
	;; [unrolled: 1-line block ×6, first 2 shown]
	v_fmamk_f32 v86, v75, 0xbf65296c, v89
	v_fmac_f32_e32 v89, 0x3f65296c, v75
	v_fmamk_f32 v90, v75, 0xbeb8f4ab, v74
	v_sub_f32_e32 v91, v59, v63
	v_mul_f32_e32 v92, 0x3ee437d1, v85
	v_fmac_f32_e32 v74, 0x3eb8f4ab, v75
	v_add_f32_e32 v82, v82, v89
	v_add_f32_e32 v75, v94, v90
	v_mul_f32_e32 v89, 0xbf1a4643, v85
	v_fmamk_f32 v90, v91, 0x3f65296c, v92
	v_fmac_f32_e32 v92, 0xbf65296c, v91
	v_add_f32_e32 v60, v60, v74
	v_mul_f32_e32 v74, 0xbf7ba420, v85
	v_add_f32_e32 v86, v93, v86
	v_fmamk_f32 v93, v91, 0x3f4c4adb, v89
	v_add_f32_e32 v72, v72, v90
	v_add_f32_e32 v73, v73, v92
	v_fmac_f32_e32 v89, 0xbf4c4adb, v91
	v_fmamk_f32 v90, v91, 0xbe3c28d5, v74
	v_mul_f32_e32 v92, 0xbe8c1d8e, v85
	v_fmac_f32_e32 v74, 0x3e3c28d5, v91
	v_add_f32_e32 v76, v76, v93
	v_add_f32_e32 v77, v77, v89
	;; [unrolled: 1-line block ×3, first 2 shown]
	v_mul_f32_e32 v89, 0x3f3d2fb0, v85
	v_fmamk_f32 v90, v91, 0xbf763a35, v92
	v_add_f32_e32 v74, v78, v74
	v_mul_f32_e32 v78, 0x3f6eb680, v85
	v_fmac_f32_e32 v92, 0x3f763a35, v91
	v_fmamk_f32 v93, v91, 0xbf2c7751, v89
	v_add_f32_e32 v87, v87, v90
	v_fmac_f32_e32 v89, 0x3f2c7751, v91
	v_fmamk_f32 v90, v91, 0x3eb8f4ab, v78
	v_fmac_f32_e32 v78, 0xbeb8f4ab, v91
	v_add_f32_e32 v79, v79, v92
	v_add_f32_e32 v88, v88, v93
	;; [unrolled: 1-line block ×3, first 2 shown]
	v_mul_f32_e32 v89, 0x3dbcf732, v85
	v_mul_f32_e32 v85, 0xbf59a7d5, v85
	v_add_f32_e32 v78, v81, v78
	v_add_f32_e32 v81, v54, v56
	;; [unrolled: 1-line block ×3, first 2 shown]
	v_fmamk_f32 v90, v91, 0x3f7ee86f, v89
	v_fmac_f32_e32 v89, 0xbf7ee86f, v91
	v_fmamk_f32 v92, v91, 0x3f06c442, v85
	v_sub_f32_e32 v93, v55, v57
	v_mul_f32_e32 v94, 0x3dbcf732, v81
	v_fmac_f32_e32 v85, 0xbf06c442, v91
	v_add_f32_e32 v86, v86, v90
	v_add_f32_e32 v82, v82, v89
	v_mul_f32_e32 v90, 0xbf7ba420, v81
	v_fmamk_f32 v89, v93, 0x3f7ee86f, v94
	v_add_f32_e32 v60, v60, v85
	v_mul_f32_e32 v85, 0xbe8c1d8e, v81
	v_add_f32_e32 v75, v75, v92
	v_mul_f32_e32 v92, 0x3f6eb680, v81
	v_add_f32_e32 v72, v89, v72
	v_fmamk_f32 v89, v93, 0x3e3c28d5, v90
	v_fmac_f32_e32 v90, 0xbe3c28d5, v93
	v_fmamk_f32 v91, v93, 0xbf763a35, v85
	v_fmac_f32_e32 v85, 0x3f763a35, v93
	v_fmac_f32_e32 v94, 0xbf7ee86f, v93
	v_add_f32_e32 v76, v89, v76
	v_add_f32_e32 v77, v90, v77
	v_fmamk_f32 v89, v93, 0xbeb8f4ab, v92
	v_mul_f32_e32 v90, 0x3ee437d1, v81
	v_fmac_f32_e32 v92, 0x3eb8f4ab, v93
	v_add_f32_e32 v74, v85, v74
	v_mul_f32_e32 v85, 0xbf59a7d5, v81
	v_add_f32_e32 v83, v91, v83
	v_add_f32_e32 v87, v89, v87
	v_fmamk_f32 v89, v93, 0x3f65296c, v90
	v_add_f32_e32 v79, v92, v79
	v_fmamk_f32 v91, v93, 0x3f06c442, v85
	v_mul_f32_e32 v92, 0xbf1a4643, v81
	v_fmac_f32_e32 v85, 0xbf06c442, v93
	v_fmac_f32_e32 v90, 0xbf65296c, v93
	v_add_f32_e32 v88, v89, v88
	v_mul_f32_e32 v81, 0x3f3d2fb0, v81
	v_fmamk_f32 v89, v93, 0xbf4c4adb, v92
	v_add_f32_e32 v78, v85, v78
	v_add_f32_e32 v85, v50, v52
	;; [unrolled: 1-line block ×4, first 2 shown]
	v_fmac_f32_e32 v92, 0x3f4c4adb, v93
	v_add_f32_e32 v86, v89, v86
	v_fmamk_f32 v89, v93, 0xbf2c7751, v81
	v_sub_f32_e32 v90, v51, v53
	v_mul_f32_e32 v91, 0xbe8c1d8e, v85
	v_fmac_f32_e32 v81, 0x3f2c7751, v93
	v_add_f32_e32 v73, v94, v73
	v_add_f32_e32 v82, v92, v82
	;; [unrolled: 1-line block ×3, first 2 shown]
	v_mul_f32_e32 v89, 0xbf59a7d5, v85
	v_fmamk_f32 v92, v90, 0x3f763a35, v91
	v_fmac_f32_e32 v91, 0xbf763a35, v90
	v_add_f32_e32 v60, v81, v60
	v_mul_f32_e32 v81, 0x3f3d2fb0, v85
	v_fmamk_f32 v93, v90, 0xbf06c442, v89
	v_add_f32_e32 v72, v92, v72
	v_add_f32_e32 v73, v91, v73
	v_fmac_f32_e32 v89, 0x3f06c442, v90
	v_fmamk_f32 v91, v90, 0xbf2c7751, v81
	v_mul_f32_e32 v92, 0x3ee437d1, v85
	v_fmac_f32_e32 v81, 0x3f2c7751, v90
	v_add_f32_e32 v76, v93, v76
	v_add_f32_e32 v77, v89, v77
	;; [unrolled: 1-line block ×3, first 2 shown]
	v_mul_f32_e32 v89, 0xbf7ba420, v85
	v_fmamk_f32 v91, v90, 0x3f65296c, v92
	v_add_f32_e32 v74, v81, v74
	v_mul_f32_e32 v81, 0x3dbcf732, v85
	v_fmac_f32_e32 v92, 0xbf65296c, v90
	v_fmamk_f32 v93, v90, 0x3e3c28d5, v89
	v_add_f32_e32 v87, v91, v87
	v_fmac_f32_e32 v89, 0xbe3c28d5, v90
	v_fmamk_f32 v91, v90, 0xbf7ee86f, v81
	v_fmac_f32_e32 v81, 0x3f7ee86f, v90
	v_add_f32_e32 v79, v92, v79
	v_add_f32_e32 v88, v93, v88
	;; [unrolled: 1-line block ×3, first 2 shown]
	v_mul_f32_e32 v89, 0x3f6eb680, v85
	v_mul_f32_e32 v85, 0xbf1a4643, v85
	v_add_f32_e32 v78, v81, v78
	v_add_f32_e32 v81, v46, v48
	;; [unrolled: 1-line block ×3, first 2 shown]
	v_fmamk_f32 v91, v90, 0x3eb8f4ab, v89
	v_fmac_f32_e32 v89, 0xbeb8f4ab, v90
	v_fmamk_f32 v92, v90, 0x3f4c4adb, v85
	v_sub_f32_e32 v93, v47, v49
	v_mul_f32_e32 v94, 0xbf1a4643, v81
	v_fmac_f32_e32 v85, 0xbf4c4adb, v90
	v_add_f32_e32 v82, v89, v82
	v_mul_f32_e32 v90, 0xbe8c1d8e, v81
	v_add_f32_e32 v86, v91, v86
	v_fmamk_f32 v89, v93, 0x3f4c4adb, v94
	v_add_f32_e32 v60, v85, v60
	v_mul_f32_e32 v85, 0x3f6eb680, v81
	v_add_f32_e32 v75, v92, v75
	v_mul_f32_e32 v92, 0xbf59a7d5, v81
	v_add_f32_e32 v72, v89, v72
	v_fmamk_f32 v89, v93, 0xbf763a35, v90
	v_fmac_f32_e32 v90, 0x3f763a35, v93
	v_fmamk_f32 v91, v93, 0x3eb8f4ab, v85
	v_fmac_f32_e32 v85, 0xbeb8f4ab, v93
	v_add_f32_e32 v24, v24, v64
	v_add_f32_e32 v76, v89, v76
	;; [unrolled: 1-line block ×3, first 2 shown]
	v_fmamk_f32 v89, v93, 0x3f06c442, v92
	v_mul_f32_e32 v90, 0x3dbcf732, v81
	v_add_f32_e32 v74, v85, v74
	v_mul_f32_e32 v85, 0x3f3d2fb0, v81
	v_add_f32_e32 v83, v91, v83
	v_add_f32_e32 v87, v89, v87
	v_fmamk_f32 v89, v93, 0xbf7ee86f, v90
	v_fmac_f32_e32 v92, 0xbf06c442, v93
	v_fmamk_f32 v91, v93, 0x3f2c7751, v85
	v_fmac_f32_e32 v85, 0xbf2c7751, v93
	v_fmac_f32_e32 v90, 0x3f7ee86f, v93
	v_add_f32_e32 v88, v89, v88
	v_mul_f32_e32 v89, 0xbf7ba420, v81
	v_add_f32_e32 v24, v24, v58
	v_add_f32_e32 v78, v85, v78
	;; [unrolled: 1-line block ×3, first 2 shown]
	v_fmac_f32_e32 v94, 0xbf4c4adb, v93
	v_add_f32_e32 v79, v92, v79
	v_add_f32_e32 v80, v90, v80
	;; [unrolled: 1-line block ×3, first 2 shown]
	v_mul_f32_e32 v81, 0x3ee437d1, v81
	v_fmamk_f32 v90, v93, 0x3e3c28d5, v89
	v_fmac_f32_e32 v89, 0xbe3c28d5, v93
	v_sub_f32_e32 v91, v43, v45
	v_mul_f32_e32 v92, 0xbf59a7d5, v85
	v_add_f32_e32 v24, v24, v54
	v_add_f32_e32 v73, v94, v73
	v_fmamk_f32 v94, v93, 0xbf65296c, v81
	v_add_f32_e32 v86, v90, v86
	v_fmac_f32_e32 v81, 0x3f65296c, v93
	v_add_f32_e32 v82, v89, v82
	v_fmamk_f32 v89, v91, 0x3f06c442, v92
	v_mul_f32_e32 v90, 0x3ee437d1, v85
	v_fmac_f32_e32 v92, 0xbf06c442, v91
	v_add_f32_e32 v24, v24, v50
	v_add_f32_e32 v60, v81, v60
	v_add_f32_e32 v72, v89, v72
	v_mul_f32_e32 v81, 0x3dbcf732, v85
	v_fmamk_f32 v89, v91, 0xbf65296c, v90
	v_add_f32_e32 v73, v92, v73
	v_mul_f32_e32 v92, 0xbf1a4643, v85
	v_add_f32_e32 v24, v24, v46
	v_fmac_f32_e32 v90, 0x3f65296c, v91
	v_fmamk_f32 v93, v91, 0x3f7ee86f, v81
	v_add_f32_e32 v76, v89, v76
	v_fmac_f32_e32 v81, 0xbf7ee86f, v91
	v_fmamk_f32 v89, v91, 0xbf4c4adb, v92
	v_add_f32_e32 v24, v24, v42
	v_add_f32_e32 v77, v90, v77
	v_mul_f32_e32 v90, 0x3f6eb680, v85
	v_fmac_f32_e32 v92, 0x3f4c4adb, v91
	v_add_f32_e32 v74, v81, v74
	v_add_f32_e32 v81, v89, v87
	v_mul_f32_e32 v87, 0xbf7ba420, v85
	v_add_f32_e32 v24, v24, v38
	v_add_f32_e32 v83, v93, v83
	v_fmamk_f32 v89, v91, 0x3eb8f4ab, v90
	v_add_f32_e32 v79, v92, v79
	v_mul_f32_e32 v92, 0x3f3d2fb0, v85
	v_fmamk_f32 v93, v91, 0x3e3c28d5, v87
	v_fmac_f32_e32 v87, 0xbe3c28d5, v91
	v_add_f32_e32 v24, v24, v40
	v_fmac_f32_e32 v90, 0xbeb8f4ab, v91
	v_add_f32_e32 v88, v89, v88
	v_fmamk_f32 v89, v91, 0xbf2c7751, v92
	v_mul_f32_e32 v85, 0xbe8c1d8e, v85
	v_add_f32_e32 v78, v87, v78
	v_add_f32_e32 v87, v38, v40
	;; [unrolled: 1-line block ×7, first 2 shown]
	v_fmac_f32_e32 v92, 0x3f2c7751, v91
	v_fmamk_f32 v89, v91, 0x3f763a35, v85
	v_sub_f32_e32 v90, v39, v41
	v_mul_f32_e32 v93, 0xbf7ba420, v87
	v_fmac_f32_e32 v85, 0xbf763a35, v91
	v_mul_f32_e32 v91, 0x3f6eb680, v87
	v_add_f32_e32 v24, v24, v48
	v_add_f32_e32 v82, v92, v82
	;; [unrolled: 1-line block ×3, first 2 shown]
	v_fmamk_f32 v89, v90, 0x3e3c28d5, v93
	v_add_f32_e32 v60, v85, v60
	v_fmamk_f32 v85, v90, 0xbeb8f4ab, v91
	v_mul_f32_e32 v92, 0xbf59a7d5, v87
	v_fmac_f32_e32 v91, 0x3eb8f4ab, v90
	v_add_f32_e32 v24, v24, v52
	v_add_f32_e32 v89, v89, v72
	;; [unrolled: 1-line block ×3, first 2 shown]
	v_fmamk_f32 v72, v90, 0x3f06c442, v92
	v_mul_f32_e32 v85, 0x3f3d2fb0, v87
	v_add_f32_e32 v77, v91, v77
	v_fmac_f32_e32 v92, 0xbf06c442, v90
	v_mul_f32_e32 v91, 0xbf1a4643, v87
	v_add_f32_e32 v24, v24, v56
	v_fmac_f32_e32 v93, 0xbe3c28d5, v90
	v_add_f32_e32 v83, v72, v83
	v_fmamk_f32 v72, v90, 0xbf2c7751, v85
	v_fmac_f32_e32 v85, 0x3f2c7751, v90
	v_add_f32_e32 v74, v92, v74
	v_fmamk_f32 v92, v90, 0x3f4c4adb, v91
	v_add_f32_e32 v24, v24, v62
	v_add_f32_e32 v73, v93, v73
	v_mul_f32_e32 v93, 0x3ee437d1, v87
	v_add_f32_e32 v79, v85, v79
	v_fmac_f32_e32 v91, 0xbf4c4adb, v90
	v_add_f32_e32 v85, v92, v88
	v_mul_f32_e32 v88, 0xbe8c1d8e, v87
	v_mul_f32_e32 v87, 0x3dbcf732, v87
	v_add_f32_e32 v24, v68, v24
	v_add_f32_e32 v81, v72, v81
	v_fmamk_f32 v72, v90, 0xbf65296c, v93
	v_fmac_f32_e32 v93, 0x3f65296c, v90
	v_add_f32_e32 v80, v91, v80
	v_fmamk_f32 v91, v90, 0x3f763a35, v88
	v_fmac_f32_e32 v88, 0xbf763a35, v90
	v_fmamk_f32 v92, v90, 0xbf7ee86f, v87
	v_fmac_f32_e32 v87, 0x3f7ee86f, v90
	v_add_f32_e32 v24, v66, v24
	v_add_f32_e32 v84, v72, v84
	;; [unrolled: 1-line block ×3, first 2 shown]
	v_mad_u32_u24 v72, 0x44, v4, 0
	v_add_f32_e32 v82, v88, v82
	v_cmp_gt_u32_e64 s0, 30, v4
	v_add_f32_e32 v86, v91, v86
	v_add_f32_e32 v75, v92, v75
	;; [unrolled: 1-line block ×3, first 2 shown]
	ds_write2_b32 v72, v24, v89 offset1:1
	ds_write2_b32 v72, v76, v83 offset0:2 offset1:3
	ds_write2_b32 v72, v81, v85 offset0:4 offset1:5
	;; [unrolled: 1-line block ×7, first 2 shown]
	ds_write_b32 v72, v73 offset:64
	s_and_saveexec_b32 s1, s0
	s_cbranch_execz .LBB0_15
; %bb.14:
	v_sub_f32_e32 v81, v37, v31
	v_add_f32_e32 v76, v36, v30
	v_sub_f32_e32 v82, v35, v33
	v_add_f32_e32 v73, v34, v32
	v_sub_f32_e32 v83, v27, v29
	v_mul_f32_e32 v86, 0xbe3c28d5, v81
	v_add_f32_e32 v24, v26, v28
	v_mul_f32_e32 v87, 0x3eb8f4ab, v82
	v_sub_f32_e32 v79, v21, v23
	v_mul_f32_e32 v88, 0xbf06c442, v83
	v_fmamk_f32 v75, v76, 0xbf7ba420, v86
	v_add_f32_e32 v60, v20, v22
	v_fmamk_f32 v77, v73, 0x3f6eb680, v87
	v_sub_f32_e32 v80, v17, v19
	v_mul_f32_e32 v89, 0x3f2c7751, v79
	v_add_f32_e32 v78, v5, v75
	v_fmamk_f32 v90, v24, 0xbf59a7d5, v88
	v_add_f32_e32 v74, v16, v18
	v_sub_f32_e32 v84, v13, v15
	v_mul_f32_e32 v91, 0xbf4c4adb, v80
	v_add_f32_e32 v78, v78, v77
	v_fmamk_f32 v92, v60, 0x3f3d2fb0, v89
	v_add_f32_e32 v75, v12, v14
	v_sub_f32_e32 v85, v9, v11
	v_fma_f32 v86, 0xbf7ba420, v76, -v86
	v_add_f32_e32 v90, v78, v90
	v_mul_f32_e32 v93, 0x3f65296c, v84
	v_fmamk_f32 v94, v74, 0xbf1a4643, v91
	v_add_f32_e32 v77, v8, v10
	v_fma_f32 v87, 0x3f6eb680, v73, -v87
	v_add_f32_e32 v90, v90, v92
	v_add_f32_e32 v86, v5, v86
	v_mul_f32_e32 v92, 0xbf763a35, v85
	v_fmamk_f32 v95, v75, 0x3ee437d1, v93
	v_fma_f32 v88, 0xbf59a7d5, v24, -v88
	v_add_f32_e32 v90, v90, v94
	v_add_f32_e32 v86, v86, v87
	v_mul_f32_e32 v87, 0xbf06c442, v81
	v_fmamk_f32 v94, v77, 0xbe8c1d8e, v92
	v_fma_f32 v89, 0x3f3d2fb0, v60, -v89
	v_add_f32_e32 v90, v90, v95
	v_add_f32_e32 v86, v86, v88
	v_sub_f32_e32 v88, v1, v3
	v_fmamk_f32 v95, v76, 0xbf59a7d5, v87
	v_add_f32_e32 v78, v0, v2
	v_add_f32_e32 v90, v90, v94
	v_mul_f32_e32 v94, 0x3f65296c, v82
	v_add_f32_e32 v86, v86, v89
	v_fma_f32 v89, 0xbf1a4643, v74, -v91
	v_mul_f32_e32 v91, 0x3f7ee86f, v88
	v_add_f32_e32 v95, v5, v95
	v_fmamk_f32 v96, v73, 0x3ee437d1, v94
	v_mul_f32_e32 v97, 0xbf7ee86f, v83
	v_add_f32_e32 v86, v86, v89
	v_fma_f32 v89, 0x3ee437d1, v75, -v93
	v_fmamk_f32 v93, v78, 0x3dbcf732, v91
	v_add_f32_e32 v95, v95, v96
	v_fmamk_f32 v96, v24, 0x3dbcf732, v97
	v_mul_f32_e32 v98, 0x3f4c4adb, v79
	v_add_f32_e32 v86, v86, v89
	v_fma_f32 v89, 0xbe8c1d8e, v77, -v92
	v_add_f32_e32 v90, v90, v93
	v_add_f32_e32 v92, v95, v96
	v_fmamk_f32 v93, v60, 0xbf1a4643, v98
	v_mul_f32_e32 v95, 0xbeb8f4ab, v80
	v_add_f32_e32 v86, v86, v89
	v_fma_f32 v89, 0x3dbcf732, v78, -v91
	v_fma_f32 v87, 0xbf59a7d5, v76, -v87
	v_add_f32_e32 v91, v92, v93
	v_fmamk_f32 v92, v74, 0x3f6eb680, v95
	v_mul_f32_e32 v93, 0xbe3c28d5, v84
	v_add_f32_e32 v86, v86, v89
	v_add_f32_e32 v87, v5, v87
	v_fma_f32 v89, 0x3ee437d1, v73, -v94
	v_add_f32_e32 v91, v91, v92
	v_fmamk_f32 v92, v75, 0xbf7ba420, v93
	v_mul_f32_e32 v94, 0xbf4c4adb, v81
	v_mul_f32_e32 v100, 0xbeb8f4ab, v83
	v_add_f32_e32 v87, v87, v89
	v_fma_f32 v89, 0x3dbcf732, v24, -v97
	v_add_f32_e32 v91, v91, v92
	v_fmamk_f32 v92, v76, 0xbf1a4643, v94
	v_mul_f32_e32 v97, 0x3f763a35, v82
	v_mul_f32_e32 v96, 0x3f2c7751, v85
	v_add_f32_e32 v87, v87, v89
	v_fma_f32 v89, 0xbf1a4643, v60, -v98
	v_add_f32_e32 v92, v5, v92
	v_fmamk_f32 v98, v73, 0xbe8c1d8e, v97
	v_fmamk_f32 v99, v77, 0x3f3d2fb0, v96
	v_fma_f32 v94, 0xbf1a4643, v76, -v94
	v_add_f32_e32 v87, v87, v89
	v_fma_f32 v89, 0x3f6eb680, v74, -v95
	v_add_f32_e32 v92, v92, v98
	v_fmamk_f32 v95, v24, 0x3f6eb680, v100
	v_mul_f32_e32 v98, 0xbf06c442, v79
	v_add_f32_e32 v91, v91, v99
	v_add_f32_e32 v87, v87, v89
	v_fma_f32 v89, 0xbf7ba420, v75, -v93
	v_add_f32_e32 v92, v92, v95
	v_fmamk_f32 v93, v60, 0xbf59a7d5, v98
	v_mul_f32_e32 v95, 0x3f7ee86f, v80
	v_mul_f32_e32 v99, 0xbf763a35, v88
	v_add_f32_e32 v87, v87, v89
	v_fma_f32 v89, 0x3f3d2fb0, v77, -v96
	v_add_f32_e32 v92, v92, v93
	v_fmamk_f32 v93, v74, 0x3dbcf732, v95
	v_mul_f32_e32 v96, 0xbf2c7751, v84
	v_fmamk_f32 v101, v78, 0xbe8c1d8e, v99
	v_add_f32_e32 v87, v87, v89
	v_add_f32_e32 v94, v5, v94
	;; [unrolled: 1-line block ×3, first 2 shown]
	v_fmamk_f32 v92, v75, 0x3f3d2fb0, v96
	v_mul_f32_e32 v93, 0xbe3c28d5, v85
	v_add_f32_e32 v91, v91, v101
	v_fma_f32 v97, 0xbe8c1d8e, v73, -v97
	v_fma_f32 v99, 0xbe8c1d8e, v78, -v99
	v_add_f32_e32 v89, v89, v92
	v_fmamk_f32 v92, v77, 0xbf7ba420, v93
	v_mul_f32_e32 v101, 0xbf763a35, v81
	v_add_f32_e32 v94, v94, v97
	v_fma_f32 v97, 0x3f6eb680, v24, -v100
	v_add_f32_e32 v87, v87, v99
	v_add_f32_e32 v89, v89, v92
	v_fmamk_f32 v92, v76, 0xbe8c1d8e, v101
	v_mul_f32_e32 v99, 0x3f06c442, v82
	v_add_f32_e32 v94, v94, v97
	v_fma_f32 v97, 0xbf59a7d5, v60, -v98
	v_mul_f32_e32 v98, 0x3f65296c, v88
	v_add_f32_e32 v92, v5, v92
	v_fmamk_f32 v100, v73, 0xbf59a7d5, v99
	v_mul_f32_e32 v102, 0x3f2c7751, v83
	v_add_f32_e32 v94, v94, v97
	v_fma_f32 v95, 0x3dbcf732, v74, -v95
	v_fmamk_f32 v97, v78, 0x3ee437d1, v98
	v_add_f32_e32 v92, v92, v100
	v_fmamk_f32 v100, v24, 0x3f3d2fb0, v102
	v_mul_f32_e32 v103, 0xbf65296c, v79
	v_add_f32_e32 v94, v94, v95
	v_fma_f32 v95, 0x3f3d2fb0, v75, -v96
	v_add_f32_e32 v89, v89, v97
	v_add_f32_e32 v92, v92, v100
	v_fmamk_f32 v96, v60, 0x3ee437d1, v103
	v_mul_f32_e32 v97, 0xbe3c28d5, v80
	v_add_f32_e32 v94, v94, v95
	v_fma_f32 v95, 0xbe8c1d8e, v76, -v101
	v_fma_f32 v93, 0xbf7ba420, v77, -v93
	v_add_f32_e32 v92, v92, v96
	v_fmamk_f32 v96, v74, 0xbf7ba420, v97
	v_mul_f32_e32 v100, 0x3f7ee86f, v84
	v_add_f32_e32 v95, v5, v95
	v_fma_f32 v99, 0xbf59a7d5, v73, -v99
	v_add_f32_e32 v93, v94, v93
	v_add_f32_e32 v92, v92, v96
	v_fmamk_f32 v94, v75, 0x3dbcf732, v100
	v_mul_f32_e32 v96, 0xbeb8f4ab, v85
	v_add_f32_e32 v95, v95, v99
	v_fma_f32 v99, 0x3f3d2fb0, v24, -v102
	v_fma_f32 v98, 0x3ee437d1, v78, -v98
	v_add_f32_e32 v92, v92, v94
	v_mul_f32_e32 v94, 0xbf7ee86f, v81
	v_fmamk_f32 v101, v77, 0x3f6eb680, v96
	v_add_f32_e32 v95, v95, v99
	v_fma_f32 v99, 0x3ee437d1, v60, -v103
	v_add_f32_e32 v93, v93, v98
	v_fmamk_f32 v98, v76, 0x3dbcf732, v94
	v_mul_f32_e32 v102, 0xbe3c28d5, v82
	v_add_f32_e32 v92, v92, v101
	v_add_f32_e32 v95, v95, v99
	v_fma_f32 v97, 0xbf7ba420, v74, -v97
	v_add_f32_e32 v98, v5, v98
	v_fmamk_f32 v99, v73, 0xbf7ba420, v102
	v_mul_f32_e32 v101, 0x3f763a35, v83
	v_mul_f32_e32 v103, 0xbf4c4adb, v88
	v_add_f32_e32 v95, v95, v97
	v_fma_f32 v97, 0x3dbcf732, v75, -v100
	v_add_f32_e32 v98, v98, v99
	v_fmamk_f32 v99, v24, 0xbe8c1d8e, v101
	v_mul_f32_e32 v100, 0x3eb8f4ab, v79
	v_fma_f32 v96, 0x3f6eb680, v77, -v96
	v_add_f32_e32 v95, v95, v97
	v_fmamk_f32 v104, v78, 0xbf1a4643, v103
	v_add_f32_e32 v97, v98, v99
	v_fmamk_f32 v98, v60, 0x3f6eb680, v100
	v_mul_f32_e32 v99, 0xbf65296c, v80
	v_add_f32_e32 v95, v95, v96
	v_fma_f32 v94, 0x3dbcf732, v76, -v94
	v_add_f32_e32 v92, v92, v104
	v_add_f32_e32 v96, v97, v98
	v_fmamk_f32 v97, v74, 0x3ee437d1, v99
	v_mul_f32_e32 v98, 0xbf06c442, v84
	v_fma_f32 v103, 0xbf1a4643, v78, -v103
	v_add_f32_e32 v94, v5, v94
	v_fma_f32 v102, 0xbf7ba420, v73, -v102
	v_add_f32_e32 v96, v96, v97
	v_fmamk_f32 v97, v75, 0xbf59a7d5, v98
	v_mul_f32_e32 v104, 0x3f4c4adb, v85
	v_add_f32_e32 v95, v95, v103
	v_add_f32_e32 v94, v94, v102
	v_fma_f32 v101, 0xbe8c1d8e, v24, -v101
	v_add_f32_e32 v96, v96, v97
	v_fmamk_f32 v97, v77, 0xbf1a4643, v104
	v_mul_f32_e32 v102, 0x3f2c7751, v88
	v_mul_f32_e32 v103, 0xbf65296c, v81
	v_add_f32_e32 v94, v94, v101
	v_fma_f32 v100, 0x3f6eb680, v60, -v100
	v_add_f32_e32 v96, v96, v97
	v_fmamk_f32 v97, v78, 0x3f3d2fb0, v102
	v_fmamk_f32 v101, v76, 0x3ee437d1, v103
	v_mul_f32_e32 v105, 0xbf4c4adb, v82
	v_add_f32_e32 v94, v94, v100
	v_fma_f32 v99, 0x3ee437d1, v74, -v99
	v_add_f32_e32 v96, v96, v97
	v_add_f32_e32 v97, v5, v101
	v_fmamk_f32 v100, v73, 0xbf1a4643, v105
	v_mul_f32_e32 v101, 0x3e3c28d5, v83
	v_add_f32_e32 v94, v94, v99
	v_fma_f32 v99, 0x3ee437d1, v76, -v103
	v_fma_f32 v98, 0xbf59a7d5, v75, -v98
	v_add_f32_e32 v97, v97, v100
	v_fmamk_f32 v100, v24, 0xbf7ba420, v101
	v_mul_f32_e32 v103, 0x3f763a35, v79
	v_add_f32_e32 v99, v5, v99
	v_fma_f32 v105, 0xbf1a4643, v73, -v105
	v_add_f32_e32 v94, v94, v98
	v_add_f32_e32 v97, v97, v100
	v_fmamk_f32 v98, v60, 0xbe8c1d8e, v103
	v_mul_f32_e32 v100, 0x3f2c7751, v80
	v_add_f32_e32 v99, v99, v105
	v_fma_f32 v101, 0xbf7ba420, v24, -v101
	v_mul_f32_e32 v105, 0xbeb8f4ab, v84
	v_add_f32_e32 v97, v97, v98
	v_fmamk_f32 v98, v74, 0x3f3d2fb0, v100
	v_fma_f32 v104, 0xbf1a4643, v77, -v104
	v_add_f32_e32 v99, v99, v101
	v_fma_f32 v101, 0xbe8c1d8e, v60, -v103
	v_mul_f32_e32 v103, 0xbf7ee86f, v85
	v_add_f32_e32 v97, v97, v98
	v_fmamk_f32 v98, v75, 0x3f6eb680, v105
	v_add_f32_e32 v94, v94, v104
	v_add_f32_e32 v99, v99, v101
	v_fma_f32 v100, 0x3f3d2fb0, v74, -v100
	v_fma_f32 v101, 0x3f3d2fb0, v78, -v102
	v_add_f32_e32 v97, v97, v98
	v_fmamk_f32 v98, v77, 0x3dbcf732, v103
	v_mul_f32_e32 v102, 0xbf06c442, v88
	v_add_f32_e32 v99, v99, v100
	v_fma_f32 v100, 0x3f6eb680, v75, -v105
	v_add_f32_e32 v94, v94, v101
	v_mul_f32_e32 v101, 0xbf2c7751, v81
	v_add_f32_e32 v97, v97, v98
	v_fmamk_f32 v98, v78, 0xbf59a7d5, v102
	v_add_f32_e32 v99, v99, v100
	v_fma_f32 v100, 0x3dbcf732, v77, -v103
	v_fmamk_f32 v103, v76, 0x3f3d2fb0, v101
	v_mul_f32_e32 v104, 0xbf7ee86f, v82
	v_add_f32_e32 v97, v97, v98
	v_fma_f32 v98, 0x3f3d2fb0, v76, -v101
	v_add_f32_e32 v99, v99, v100
	v_add_f32_e32 v100, v5, v103
	v_fmamk_f32 v101, v73, 0x3dbcf732, v104
	v_mul_f32_e32 v103, 0xbf4c4adb, v83
	v_add_f32_e32 v98, v5, v98
	v_fma_f32 v104, 0x3dbcf732, v73, -v104
	v_fma_f32 v102, 0xbf59a7d5, v78, -v102
	v_add_f32_e32 v100, v100, v101
	v_fmamk_f32 v101, v24, 0xbf1a4643, v103
	v_mul_f32_e32 v105, 0xbe3c28d5, v79
	v_add_f32_e32 v98, v98, v104
	v_fma_f32 v103, 0xbf1a4643, v24, -v103
	v_add_f32_e32 v99, v99, v102
	v_add_f32_e32 v100, v100, v101
	v_fmamk_f32 v101, v60, 0xbf7ba420, v105
	v_mul_f32_e32 v102, 0x3f06c442, v80
	v_add_f32_e32 v98, v98, v103
	v_add_f32_e32 v103, v5, v36
	v_fma_f32 v104, 0xbf7ba420, v60, -v105
	v_add_f32_e32 v100, v100, v101
	v_fmamk_f32 v101, v74, 0xbf59a7d5, v102
	v_mul_f32_e32 v105, 0x3f763a35, v84
	v_add_f32_e32 v103, v103, v34
	v_add_f32_e32 v98, v98, v104
	v_fma_f32 v102, 0xbf59a7d5, v74, -v102
	v_add_f32_e32 v100, v100, v101
	v_fmamk_f32 v101, v75, 0xbe8c1d8e, v105
	v_add_f32_e32 v103, v103, v26
	v_mul_f32_e32 v104, 0x3f65296c, v85
	v_add_f32_e32 v98, v98, v102
	v_fma_f32 v102, 0xbe8c1d8e, v75, -v105
	v_add_f32_e32 v100, v100, v101
	v_add_f32_e32 v101, v103, v20
	v_mul_f32_e32 v81, 0xbeb8f4ab, v81
	v_mul_f32_e32 v82, 0xbf2c7751, v82
	v_add_f32_e32 v98, v98, v102
	v_fma_f32 v102, 0x3ee437d1, v77, -v104
	v_add_f32_e32 v101, v101, v16
	v_mul_f32_e32 v83, 0xbf65296c, v83
	v_mul_f32_e32 v79, 0xbf7ee86f, v79
	;; [unrolled: 1-line block ×3, first 2 shown]
	v_add_f32_e32 v98, v98, v102
	v_add_f32_e32 v101, v101, v12
	v_fma_f32 v102, 0x3f6eb680, v76, -v81
	v_fmamk_f32 v76, v76, 0x3f6eb680, v81
	v_mul_f32_e32 v105, 0x3eb8f4ab, v88
	v_fmamk_f32 v103, v77, 0x3ee437d1, v104
	v_add_f32_e32 v81, v101, v8
	v_add_f32_e32 v101, v5, v102
	v_fma_f32 v102, 0x3f3d2fb0, v73, -v82
	v_add_f32_e32 v5, v5, v76
	v_fmamk_f32 v73, v73, 0x3f3d2fb0, v82
	v_add_f32_e32 v76, v81, v0
	v_fma_f32 v82, 0x3ee437d1, v24, -v83
	v_add_f32_e32 v81, v101, v102
	v_fmamk_f32 v24, v24, 0x3ee437d1, v83
	v_add_f32_e32 v5, v5, v73
	v_add_f32_e32 v76, v76, v2
	v_fma_f32 v104, 0x3f6eb680, v78, -v105
	v_add_f32_e32 v73, v81, v82
	v_fma_f32 v81, 0x3dbcf732, v60, -v79
	v_add_f32_e32 v5, v5, v24
	v_add_f32_e32 v76, v10, v76
	v_fmamk_f32 v24, v60, 0x3dbcf732, v79
	v_mul_f32_e32 v79, 0xbf4c4adb, v84
	v_add_f32_e32 v60, v73, v81
	v_add_f32_e32 v100, v100, v103
	;; [unrolled: 1-line block ×3, first 2 shown]
	v_fma_f32 v76, 0xbe8c1d8e, v74, -v80
	v_add_f32_e32 v5, v5, v24
	v_fmamk_f32 v24, v74, 0xbe8c1d8e, v80
	v_fma_f32 v74, 0xbf1a4643, v75, -v79
	v_add_f32_e32 v73, v18, v73
	v_add_f32_e32 v60, v60, v76
	v_mul_f32_e32 v76, 0xbf06c442, v85
	v_add_f32_e32 v5, v5, v24
	v_fmamk_f32 v103, v78, 0x3f6eb680, v105
	v_add_f32_e32 v24, v22, v73
	v_fmamk_f32 v73, v75, 0xbf1a4643, v79
	v_add_f32_e32 v60, v60, v74
	v_fma_f32 v74, 0xbf59a7d5, v77, -v76
	v_mul_f32_e32 v75, 0xbe3c28d5, v88
	v_add_f32_e32 v24, v28, v24
	v_add_f32_e32 v5, v5, v73
	v_fmamk_f32 v73, v77, 0xbf59a7d5, v76
	v_add_f32_e32 v60, v60, v74
	v_fma_f32 v74, 0xbf7ba420, v78, -v75
	v_add_f32_e32 v24, v32, v24
	v_add_f32_e32 v76, v98, v104
	;; [unrolled: 1-line block ×3, first 2 shown]
	v_fmamk_f32 v73, v78, 0xbf7ba420, v75
	v_add_f32_e32 v60, v60, v74
	v_add_f32_e32 v24, v30, v24
	v_add_nc_u32_e32 v74, 0xd8c, v72
	v_add_nc_u32_e32 v75, 0xd94, v72
	;; [unrolled: 1-line block ×3, first 2 shown]
	ds_write2_b32 v74, v24, v60 offset1:1
	ds_write2_b32 v75, v76, v99 offset1:1
	;; [unrolled: 1-line block ×3, first 2 shown]
	v_add_nc_u32_e32 v24, 0xda4, v72
	v_add_nc_u32_e32 v60, 0xdac, v72
	v_add_f32_e32 v5, v5, v73
	v_add_nc_u32_e32 v73, 0xdb4, v72
	v_add_nc_u32_e32 v74, 0xdbc, v72
	v_add_f32_e32 v78, v100, v103
	v_add_nc_u32_e32 v75, 0xdc4, v72
	ds_write2_b32 v24, v93, v87 offset1:1
	ds_write2_b32 v60, v86, v90 offset1:1
	;; [unrolled: 1-line block ×5, first 2 shown]
	ds_write_b32 v72, v5 offset:3532
.LBB0_15:
	s_or_b32 exec_lo, exec_lo, s1
	v_add_f32_e32 v5, v61, v71
	v_sub_f32_e32 v24, v70, v66
	v_add_f32_e32 v60, v67, v71
	v_add_f32_e32 v66, v69, v65
	v_sub_f32_e32 v64, v64, v68
	v_add_f32_e32 v5, v5, v65
	v_mul_f32_e32 v65, 0xbeb8f4ab, v24
	v_mul_f32_e32 v68, 0xbf2c7751, v24
	;; [unrolled: 1-line block ×4, first 2 shown]
	v_add_f32_e32 v5, v5, v59
	v_mul_f32_e32 v73, 0xbf763a35, v24
	v_mul_f32_e32 v74, 0xbf4c4adb, v24
	;; [unrolled: 1-line block ×4, first 2 shown]
	v_add_f32_e32 v5, v5, v55
	v_mul_f32_e32 v76, 0xbf2c7751, v64
	v_mul_f32_e32 v77, 0xbf7ee86f, v64
	v_mul_f32_e32 v78, 0xbf4c4adb, v64
	v_fmamk_f32 v81, v60, 0x3f6eb680, v65
	v_add_f32_e32 v5, v5, v51
	v_fma_f32 v65, 0x3f6eb680, v60, -v65
	v_fmamk_f32 v82, v60, 0x3f3d2fb0, v68
	v_fma_f32 v68, 0x3f3d2fb0, v60, -v68
	v_fmamk_f32 v83, v60, 0x3ee437d1, v70
	v_add_f32_e32 v5, v5, v47
	v_fma_f32 v70, 0x3ee437d1, v60, -v70
	v_mul_f32_e32 v79, 0xbe3c28d5, v64
	v_mul_f32_e32 v80, 0x3f06c442, v64
	v_fmamk_f32 v84, v60, 0x3dbcf732, v71
	v_add_f32_e32 v5, v5, v43
	v_fma_f32 v71, 0x3dbcf732, v60, -v71
	v_fmamk_f32 v85, v60, 0xbe8c1d8e, v73
	v_fma_f32 v73, 0xbe8c1d8e, v60, -v73
	v_fmamk_f32 v86, v60, 0xbf1a4643, v74
	v_add_f32_e32 v5, v5, v39
	v_fma_f32 v74, 0xbf1a4643, v60, -v74
	v_fmamk_f32 v87, v60, 0xbf59a7d5, v75
	v_fma_f32 v75, 0xbf59a7d5, v60, -v75
	;; [unrolled: 5-line block ×4, first 2 shown]
	v_add_f32_e32 v65, v65, v61
	v_add_f32_e32 v5, v5, v49
	;; [unrolled: 1-line block ×23, first 2 shown]
	v_mul_f32_e32 v77, 0x3f763a35, v64
	v_sub_f32_e32 v58, v58, v62
	v_add_f32_e32 v59, v63, v59
	v_add_f32_e32 v76, v67, v5
	v_fmamk_f32 v5, v66, 0xbf7ba420, v79
	v_add_f32_e32 v67, v70, v78
	v_fma_f32 v70, 0xbf7ba420, v66, -v79
	v_fma_f32 v79, 0xbf59a7d5, v66, -v80
	v_mul_f32_e32 v63, 0xbf65296c, v58
	v_add_f32_e32 v60, v81, v60
	v_fmamk_f32 v78, v66, 0xbf59a7d5, v80
	v_add_f32_e32 v70, v71, v70
	v_fmamk_f32 v71, v66, 0xbe8c1d8e, v77
	v_fma_f32 v77, 0xbe8c1d8e, v66, -v77
	v_add_f32_e32 v73, v73, v79
	v_mul_f32_e32 v79, 0x3f65296c, v64
	v_mul_f32_e32 v64, 0x3eb8f4ab, v64
	;; [unrolled: 1-line block ×3, first 2 shown]
	v_add_f32_e32 v74, v74, v77
	v_add_f32_e32 v65, v82, v89
	v_fmamk_f32 v62, v66, 0x3ee437d1, v79
	v_fma_f32 v77, 0x3ee437d1, v66, -v79
	v_fmamk_f32 v79, v66, 0x3f6eb680, v64
	v_fma_f32 v64, 0x3f6eb680, v66, -v64
	v_add_f32_e32 v69, v83, v90
	v_add_f32_e32 v5, v84, v5
	;; [unrolled: 1-line block ×4, first 2 shown]
	v_fmamk_f32 v77, v59, 0x3ee437d1, v63
	v_mul_f32_e32 v79, 0xbf4c4adb, v58
	v_add_f32_e32 v24, v24, v64
	v_fma_f32 v63, 0x3ee437d1, v59, -v63
	v_mul_f32_e32 v64, 0x3e3c28d5, v58
	v_add_f32_e32 v60, v60, v77
	v_fmamk_f32 v77, v59, 0xbf1a4643, v79
	v_fma_f32 v79, 0xbf1a4643, v59, -v79
	v_add_f32_e32 v61, v61, v63
	v_fmamk_f32 v63, v59, 0xbf7ba420, v64
	v_fma_f32 v64, 0xbf7ba420, v59, -v64
	v_add_f32_e32 v65, v65, v77
	v_add_f32_e32 v68, v68, v79
	v_fma_f32 v79, 0xbe8c1d8e, v59, -v80
	v_add_f32_e32 v63, v69, v63
	v_add_f32_e32 v64, v67, v64
	v_mul_f32_e32 v67, 0xbeb8f4ab, v58
	v_fmamk_f32 v69, v59, 0xbe8c1d8e, v80
	v_mul_f32_e32 v77, 0x3f2c7751, v58
	v_add_f32_e32 v70, v70, v79
	v_mul_f32_e32 v80, 0xbf7ee86f, v58
	v_fmamk_f32 v79, v59, 0x3f6eb680, v67
	v_fma_f32 v67, 0x3f6eb680, v59, -v67
	v_mul_f32_e32 v58, 0xbf06c442, v58
	v_sub_f32_e32 v54, v54, v56
	v_add_f32_e32 v5, v5, v69
	v_fmamk_f32 v69, v59, 0x3f3d2fb0, v77
	v_fma_f32 v77, 0x3f3d2fb0, v59, -v77
	v_add_f32_e32 v67, v74, v67
	v_fma_f32 v56, 0x3dbcf732, v59, -v80
	v_fmamk_f32 v74, v59, 0xbf59a7d5, v58
	v_add_f32_e32 v55, v55, v57
	v_mul_f32_e32 v57, 0xbf7ee86f, v54
	v_fma_f32 v58, 0xbf59a7d5, v59, -v58
	v_add_f32_e32 v73, v73, v77
	v_fmamk_f32 v77, v59, 0x3dbcf732, v80
	v_add_f32_e32 v56, v66, v56
	v_add_f32_e32 v59, v75, v74
	v_mul_f32_e32 v66, 0xbe3c28d5, v54
	v_fmamk_f32 v74, v55, 0x3dbcf732, v57
	v_fma_f32 v57, 0x3dbcf732, v55, -v57
	v_add_f32_e32 v24, v24, v58
	v_mul_f32_e32 v58, 0x3f763a35, v54
	v_fmamk_f32 v75, v55, 0xbf7ba420, v66
	v_add_f32_e32 v60, v74, v60
	v_add_f32_e32 v57, v57, v61
	v_fma_f32 v61, 0xbf7ba420, v55, -v66
	v_fmamk_f32 v66, v55, 0xbe8c1d8e, v58
	v_mul_f32_e32 v74, 0x3eb8f4ab, v54
	v_fma_f32 v58, 0xbe8c1d8e, v55, -v58
	v_add_f32_e32 v71, v86, v71
	v_add_f32_e32 v65, v75, v65
	;; [unrolled: 1-line block ×3, first 2 shown]
	v_mul_f32_e32 v66, 0xbf65296c, v54
	v_add_f32_e32 v61, v61, v68
	v_fmamk_f32 v68, v55, 0x3f6eb680, v74
	v_add_f32_e32 v58, v58, v64
	v_fma_f32 v64, 0x3f6eb680, v55, -v74
	v_mul_f32_e32 v74, 0xbf06c442, v54
	v_fmamk_f32 v75, v55, 0x3ee437d1, v66
	v_fma_f32 v66, 0x3ee437d1, v55, -v66
	v_add_f32_e32 v62, v87, v62
	v_add_f32_e32 v71, v71, v79
	v_add_f32_e32 v5, v68, v5
	v_add_f32_e32 v64, v64, v70
	v_fmamk_f32 v68, v55, 0xbf59a7d5, v74
	v_fma_f32 v70, 0xbf59a7d5, v55, -v74
	v_add_f32_e32 v66, v66, v73
	v_mul_f32_e32 v73, 0x3f4c4adb, v54
	v_mul_f32_e32 v54, 0x3f2c7751, v54
	v_sub_f32_e32 v50, v50, v52
	v_add_f32_e32 v62, v62, v77
	v_add_f32_e32 v68, v68, v71
	;; [unrolled: 1-line block ×3, first 2 shown]
	v_fmamk_f32 v52, v55, 0xbf1a4643, v73
	v_fma_f32 v70, 0xbf1a4643, v55, -v73
	v_fmamk_f32 v71, v55, 0x3f3d2fb0, v54
	v_add_f32_e32 v51, v51, v53
	v_mul_f32_e32 v53, 0xbf763a35, v50
	v_fma_f32 v54, 0x3f3d2fb0, v55, -v54
	v_add_f32_e32 v52, v52, v62
	v_add_f32_e32 v55, v70, v56
	;; [unrolled: 1-line block ×3, first 2 shown]
	v_fmamk_f32 v59, v51, 0xbe8c1d8e, v53
	v_mul_f32_e32 v62, 0x3f06c442, v50
	v_add_f32_e32 v24, v54, v24
	v_fma_f32 v53, 0xbe8c1d8e, v51, -v53
	v_mul_f32_e32 v54, 0x3f2c7751, v50
	v_add_f32_e32 v59, v59, v60
	v_fmamk_f32 v60, v51, 0xbf59a7d5, v62
	v_fma_f32 v62, 0xbf59a7d5, v51, -v62
	v_add_f32_e32 v53, v53, v57
	v_fmamk_f32 v57, v51, 0x3f3d2fb0, v54
	v_mul_f32_e32 v70, 0xbf65296c, v50
	v_add_f32_e32 v60, v60, v65
	v_add_f32_e32 v61, v62, v61
	v_fma_f32 v54, 0x3f3d2fb0, v51, -v54
	v_add_f32_e32 v57, v57, v63
	v_fmamk_f32 v62, v51, 0x3ee437d1, v70
	v_mul_f32_e32 v63, 0xbe3c28d5, v50
	v_fma_f32 v65, 0x3ee437d1, v51, -v70
	v_mul_f32_e32 v70, 0xbeb8f4ab, v50
	v_add_f32_e32 v54, v54, v58
	v_add_f32_e32 v5, v62, v5
	v_fmamk_f32 v62, v51, 0xbf7ba420, v63
	v_fma_f32 v63, 0xbf7ba420, v51, -v63
	v_mul_f32_e32 v58, 0x3f7ee86f, v50
	v_mul_f32_e32 v50, 0xbf4c4adb, v50
	v_sub_f32_e32 v46, v46, v48
	v_fma_f32 v48, 0x3f6eb680, v51, -v70
	v_add_f32_e32 v63, v63, v66
	v_fmamk_f32 v66, v51, 0x3f6eb680, v70
	v_add_f32_e32 v47, v47, v49
	v_mul_f32_e32 v49, 0xbf4c4adb, v46
	v_add_f32_e32 v64, v65, v64
	v_fmamk_f32 v65, v51, 0x3dbcf732, v58
	v_add_f32_e32 v52, v66, v52
	v_fmamk_f32 v66, v51, 0xbf1a4643, v50
	v_fma_f32 v50, 0xbf1a4643, v51, -v50
	v_fma_f32 v58, 0x3dbcf732, v51, -v58
	v_add_f32_e32 v48, v48, v55
	v_mul_f32_e32 v55, 0x3f763a35, v46
	v_add_f32_e32 v51, v66, v56
	v_fmamk_f32 v56, v47, 0xbf1a4643, v49
	v_fma_f32 v49, 0xbf1a4643, v47, -v49
	v_add_f32_e32 v24, v50, v24
	v_mul_f32_e32 v50, 0xbeb8f4ab, v46
	v_fmamk_f32 v66, v47, 0xbe8c1d8e, v55
	v_add_f32_e32 v56, v56, v59
	v_add_f32_e32 v49, v49, v53
	v_fma_f32 v53, 0xbe8c1d8e, v47, -v55
	v_fmamk_f32 v55, v47, 0x3f6eb680, v50
	v_add_f32_e32 v59, v66, v60
	v_mul_f32_e32 v60, 0xbf06c442, v46
	v_fma_f32 v50, 0x3f6eb680, v47, -v50
	v_add_f32_e32 v53, v53, v61
	v_add_f32_e32 v55, v55, v57
	v_mul_f32_e32 v57, 0x3f7ee86f, v46
	v_fmamk_f32 v61, v47, 0xbf59a7d5, v60
	v_add_f32_e32 v50, v50, v54
	v_fma_f32 v54, 0xbf59a7d5, v47, -v60
	v_mul_f32_e32 v60, 0xbf2c7751, v46
	v_fmamk_f32 v66, v47, 0x3dbcf732, v57
	v_fma_f32 v57, 0x3dbcf732, v47, -v57
	v_add_f32_e32 v58, v58, v67
	v_add_f32_e32 v5, v61, v5
	v_fmamk_f32 v61, v47, 0x3f3d2fb0, v60
	v_fma_f32 v60, 0x3f3d2fb0, v47, -v60
	v_add_f32_e32 v57, v57, v63
	v_mul_f32_e32 v63, 0xbe3c28d5, v46
	v_mul_f32_e32 v46, 0x3f65296c, v46
	v_sub_f32_e32 v42, v42, v44
	v_add_f32_e32 v58, v60, v58
	v_add_f32_e32 v43, v43, v45
	v_fmamk_f32 v44, v47, 0xbf7ba420, v63
	v_fma_f32 v60, 0xbf7ba420, v47, -v63
	v_fmamk_f32 v63, v47, 0x3ee437d1, v46
	v_mul_f32_e32 v45, 0xbf06c442, v42
	v_fma_f32 v46, 0x3ee437d1, v47, -v46
	v_add_f32_e32 v44, v44, v52
	v_add_f32_e32 v47, v60, v48
	;; [unrolled: 1-line block ×3, first 2 shown]
	v_fmamk_f32 v51, v43, 0xbf59a7d5, v45
	v_mul_f32_e32 v52, 0x3f65296c, v42
	v_add_f32_e32 v24, v46, v24
	v_fma_f32 v45, 0xbf59a7d5, v43, -v45
	v_mul_f32_e32 v46, 0xbf7ee86f, v42
	v_add_f32_e32 v51, v51, v56
	v_fmamk_f32 v56, v43, 0x3ee437d1, v52
	v_fma_f32 v52, 0x3ee437d1, v43, -v52
	v_add_f32_e32 v45, v45, v49
	v_fmamk_f32 v49, v43, 0x3dbcf732, v46
	v_mul_f32_e32 v60, 0x3f4c4adb, v42
	v_fma_f32 v46, 0x3dbcf732, v43, -v46
	v_add_f32_e32 v65, v65, v68
	v_add_f32_e32 v54, v54, v64
	;; [unrolled: 1-line block ×5, first 2 shown]
	v_fmamk_f32 v53, v43, 0xbf1a4643, v60
	v_mul_f32_e32 v55, 0xbeb8f4ab, v42
	v_fma_f32 v59, 0xbf1a4643, v43, -v60
	v_add_f32_e32 v46, v46, v50
	v_mul_f32_e32 v50, 0xbe3c28d5, v42
	v_add_f32_e32 v61, v61, v65
	v_add_f32_e32 v5, v53, v5
	v_fmamk_f32 v53, v43, 0x3f6eb680, v55
	v_add_f32_e32 v54, v59, v54
	v_fma_f32 v55, 0x3f6eb680, v43, -v55
	v_fmamk_f32 v59, v43, 0xbf7ba420, v50
	v_mul_f32_e32 v60, 0x3f2c7751, v42
	v_sub_f32_e32 v38, v38, v40
	v_mul_f32_e32 v42, 0xbf763a35, v42
	v_add_f32_e32 v55, v55, v57
	v_add_f32_e32 v57, v59, v61
	v_fmamk_f32 v59, v43, 0x3f3d2fb0, v60
	v_fma_f32 v40, 0x3f3d2fb0, v43, -v60
	v_add_f32_e32 v71, v39, v41
	v_mul_f32_e32 v39, 0xbe3c28d5, v38
	v_mul_f32_e32 v41, 0x3eb8f4ab, v38
	v_add_f32_e32 v70, v59, v44
	v_fmamk_f32 v44, v43, 0xbe8c1d8e, v42
	v_add_f32_e32 v73, v40, v47
	v_fma_f32 v40, 0xbe8c1d8e, v43, -v42
	v_fmamk_f32 v42, v71, 0xbf7ba420, v39
	v_fma_f32 v39, 0xbf7ba420, v71, -v39
	v_add_f32_e32 v78, v85, v78
	v_fma_f32 v50, 0xbf7ba420, v43, -v50
	v_add_f32_e32 v77, v40, v24
	v_mul_f32_e32 v24, 0xbf06c442, v38
	v_fmamk_f32 v40, v71, 0x3f6eb680, v41
	v_add_f32_e32 v79, v39, v45
	v_fma_f32 v39, 0x3f6eb680, v71, -v41
	v_add_f32_e32 v69, v78, v69
	v_fmamk_f32 v41, v71, 0xbf59a7d5, v24
	v_add_f32_e32 v80, v40, v56
	v_fma_f32 v24, 0xbf59a7d5, v71, -v24
	v_mul_f32_e32 v40, 0x3f2c7751, v38
	v_add_f32_e32 v81, v39, v52
	v_mul_f32_e32 v39, 0xbf4c4adb, v38
	v_add_f32_e32 v69, v75, v69
	v_add_f32_e32 v78, v42, v51
	;; [unrolled: 1-line block ×4, first 2 shown]
	v_fmamk_f32 v24, v71, 0x3f3d2fb0, v40
	v_mul_f32_e32 v41, 0x3f65296c, v38
	v_fmamk_f32 v42, v71, 0xbf1a4643, v39
	v_fma_f32 v39, 0xbf1a4643, v71, -v39
	v_add_f32_e32 v62, v62, v69
	v_add_f32_e32 v84, v24, v5
	v_fmamk_f32 v5, v71, 0x3ee437d1, v41
	v_mul_f32_e32 v24, 0xbf763a35, v38
	v_add_f32_e32 v87, v39, v55
	v_lshlrev_b32_e32 v39, 6, v4
	v_add_f32_e32 v62, v66, v62
	v_add_f32_e32 v88, v5, v57
	v_fma_f32 v40, 0x3f3d2fb0, v71, -v40
	v_fmamk_f32 v91, v71, 0xbe8c1d8e, v24
	v_sub_nc_u32_e32 v5, v72, v39
	v_add_f32_e32 v53, v53, v62
	v_fma_f32 v92, 0xbe8c1d8e, v71, -v24
	v_add_f32_e32 v64, v50, v58
	v_add_f32_e32 v74, v44, v48
	v_add_nc_u32_e32 v66, 0x400, v5
	v_add_nc_u32_e32 v67, 0x600, v5
	;; [unrolled: 1-line block ×6, first 2 shown]
	v_add_f32_e32 v85, v40, v54
	v_add_f32_e32 v86, v42, v53
	v_mul_f32_e32 v89, 0x3f7ee86f, v38
	v_fma_f32 v90, 0x3ee437d1, v71, -v41
	s_waitcnt lgkmcnt(0)
	s_barrier
	buffer_gl0_inv
	ds_read2_b32 v[40:41], v5 offset1:51
	ds_read2_b32 v[38:39], v66 offset0:152 offset1:203
	ds_read2_b32 v[62:63], v65 offset0:150 offset1:201
	ds_read2_b32 v[56:57], v67 offset0:126 offset1:177
	ds_read2_b32 v[46:47], v5 offset0:102 offset1:153
	ds_read2_b32 v[54:55], v24 offset0:124 offset1:175
	ds_read2_b32 v[52:53], v68 offset0:100 offset1:151
	ds_read2_b32 v[44:45], v5 offset0:204 offset1:255
	ds_read2_b32 v[48:49], v69 offset0:98 offset1:149
	ds_read2_b32 v[50:51], v68 offset0:202 offset1:253
	ds_read2_b32 v[42:43], v66 offset0:50 offset1:101
	ds_read2_b32 v[58:59], v69 offset0:200 offset1:251
	ds_read2_b32 v[60:61], v65 offset0:48 offset1:99
	ds_read_b32 v75, v5 offset:5304
	v_fmamk_f32 v93, v71, 0x3dbcf732, v89
	v_fma_f32 v71, 0x3dbcf732, v71, -v89
	v_add_f32_e32 v89, v90, v64
	v_add_nc_u32_e32 v64, 51, v4
	v_add_f32_e32 v70, v91, v70
	v_add_f32_e32 v74, v93, v74
	;; [unrolled: 1-line block ×4, first 2 shown]
	s_waitcnt lgkmcnt(0)
	s_barrier
	buffer_gl0_inv
	ds_write2_b32 v72, v76, v78 offset1:1
	ds_write2_b32 v72, v80, v82 offset0:2 offset1:3
	ds_write2_b32 v72, v84, v86 offset0:4 offset1:5
	;; [unrolled: 1-line block ×7, first 2 shown]
	ds_write_b32 v72, v79 offset:64
	s_and_saveexec_b32 s1, s0
	s_cbranch_execz .LBB0_17
; %bb.16:
	v_add_f32_e32 v70, v25, v37
	v_sub_f32_e32 v32, v34, v32
	v_sub_f32_e32 v30, v36, v30
	v_add_f32_e32 v36, v37, v31
	v_add_f32_e32 v37, v35, v33
	;; [unrolled: 1-line block ×3, first 2 shown]
	v_mul_f32_e32 v77, 0xbf2c7751, v32
	v_mul_f32_e32 v35, 0xbeb8f4ab, v30
	;; [unrolled: 1-line block ×4, first 2 shown]
	v_add_f32_e32 v34, v34, v27
	v_mul_f32_e32 v72, 0xbf7ee86f, v30
	v_mul_f32_e32 v73, 0xbf763a35, v30
	;; [unrolled: 1-line block ×4, first 2 shown]
	v_add_f32_e32 v34, v34, v21
	v_mul_f32_e32 v30, 0xbe3c28d5, v30
	v_mul_f32_e32 v78, 0xbf7ee86f, v32
	v_fmamk_f32 v81, v36, 0x3f6eb680, v35
	v_fma_f32 v35, 0x3f6eb680, v36, -v35
	v_add_f32_e32 v34, v34, v17
	v_fmamk_f32 v82, v36, 0x3f3d2fb0, v70
	v_fma_f32 v70, 0x3f3d2fb0, v36, -v70
	v_mul_f32_e32 v80, 0xbe3c28d5, v32
	v_fmamk_f32 v83, v36, 0x3ee437d1, v71
	v_add_f32_e32 v34, v34, v13
	v_fma_f32 v71, 0x3ee437d1, v36, -v71
	v_fmamk_f32 v84, v36, 0x3dbcf732, v72
	v_fma_f32 v72, 0x3dbcf732, v36, -v72
	v_fmamk_f32 v85, v36, 0xbe8c1d8e, v73
	v_add_f32_e32 v34, v34, v9
	v_fma_f32 v73, 0xbe8c1d8e, v36, -v73
	v_fmamk_f32 v86, v36, 0xbf1a4643, v74
	v_fma_f32 v74, 0xbf1a4643, v36, -v74
	;; [unrolled: 5-line block ×4, first 2 shown]
	v_add_f32_e32 v81, v25, v81
	v_add_f32_e32 v34, v11, v34
	;; [unrolled: 1-line block ×23, first 2 shown]
	v_mul_f32_e32 v78, 0x3f763a35, v32
	v_mul_f32_e32 v79, 0xbf4c4adb, v32
	;; [unrolled: 1-line block ×3, first 2 shown]
	v_add_f32_e32 v33, v33, v34
	v_add_f32_e32 v34, v35, v77
	v_fma_f32 v77, 0xbf7ba420, v37, -v80
	v_sub_f32_e32 v26, v26, v28
	v_fmamk_f32 v91, v37, 0xbf7ba420, v80
	v_add_f32_e32 v31, v31, v33
	v_mul_f32_e32 v33, 0x3f06c442, v32
	v_add_f32_e32 v72, v72, v77
	v_fmamk_f32 v77, v37, 0xbe8c1d8e, v78
	v_fma_f32 v78, 0xbe8c1d8e, v37, -v78
	v_mul_f32_e32 v32, 0x3eb8f4ab, v32
	v_fmamk_f32 v80, v37, 0xbf59a7d5, v33
	v_fma_f32 v33, 0xbf59a7d5, v37, -v33
	v_fma_f32 v28, 0x3ee437d1, v37, -v81
	v_add_f32_e32 v74, v74, v78
	v_fmamk_f32 v78, v37, 0x3f6eb680, v32
	v_add_f32_e32 v27, v27, v29
	v_mul_f32_e32 v29, 0xbf65296c, v26
	v_fma_f32 v32, 0x3f6eb680, v37, -v32
	v_fmamk_f32 v90, v37, 0xbf1a4643, v79
	v_fma_f32 v79, 0xbf1a4643, v37, -v79
	v_add_f32_e32 v33, v73, v33
	v_add_f32_e32 v73, v86, v77
	v_fmamk_f32 v77, v37, 0x3ee437d1, v81
	v_add_f32_e32 v28, v76, v28
	v_add_f32_e32 v37, v88, v78
	v_mul_f32_e32 v76, 0xbf4c4adb, v26
	v_fmamk_f32 v78, v27, 0x3ee437d1, v29
	v_fma_f32 v29, 0x3ee437d1, v27, -v29
	v_add_f32_e32 v25, v25, v32
	v_mul_f32_e32 v32, 0x3e3c28d5, v26
	v_add_f32_e32 v70, v83, v90
	v_fmamk_f32 v81, v27, 0xbf1a4643, v76
	v_add_f32_e32 v29, v34, v29
	v_fma_f32 v34, 0xbf1a4643, v27, -v76
	v_fmamk_f32 v76, v27, 0xbf7ba420, v32
	v_add_f32_e32 v35, v82, v89
	v_add_f32_e32 v71, v71, v79
	;; [unrolled: 1-line block ×3, first 2 shown]
	v_mul_f32_e32 v78, 0x3f763a35, v26
	v_fma_f32 v32, 0xbf7ba420, v27, -v32
	v_add_f32_e32 v34, v36, v34
	v_add_f32_e32 v36, v70, v76
	v_mul_f32_e32 v70, 0x3f2c7751, v26
	v_add_f32_e32 v35, v35, v81
	v_fmamk_f32 v76, v27, 0xbe8c1d8e, v78
	v_add_f32_e32 v32, v71, v32
	v_fma_f32 v71, 0xbe8c1d8e, v27, -v78
	v_mul_f32_e32 v78, 0xbeb8f4ab, v26
	v_fmamk_f32 v81, v27, 0x3f3d2fb0, v70
	v_fma_f32 v70, 0x3f3d2fb0, v27, -v70
	v_sub_f32_e32 v20, v20, v22
	v_add_f32_e32 v71, v72, v71
	v_fmamk_f32 v72, v27, 0x3f6eb680, v78
	v_fma_f32 v78, 0x3f6eb680, v27, -v78
	v_add_f32_e32 v33, v33, v70
	v_mul_f32_e32 v70, 0xbf7ee86f, v26
	v_mul_f32_e32 v26, 0xbf06c442, v26
	v_add_f32_e32 v72, v73, v72
	v_add_f32_e32 v73, v74, v78
	;; [unrolled: 1-line block ×3, first 2 shown]
	v_fmamk_f32 v22, v27, 0x3dbcf732, v70
	v_fma_f32 v70, 0x3dbcf732, v27, -v70
	v_fmamk_f32 v74, v27, 0xbf59a7d5, v26
	v_mul_f32_e32 v23, 0xbf7ee86f, v20
	v_fma_f32 v26, 0xbf59a7d5, v27, -v26
	v_add_f32_e32 v79, v84, v91
	v_add_f32_e32 v27, v28, v70
	;; [unrolled: 1-line block ×3, first 2 shown]
	v_fmamk_f32 v37, v21, 0x3dbcf732, v23
	v_mul_f32_e32 v70, 0xbe3c28d5, v20
	v_add_f32_e32 v25, v25, v26
	v_fma_f32 v23, 0x3dbcf732, v21, -v23
	v_mul_f32_e32 v26, 0x3f763a35, v20
	v_add_f32_e32 v30, v30, v37
	v_fmamk_f32 v37, v21, 0xbf7ba420, v70
	v_fma_f32 v70, 0xbf7ba420, v21, -v70
	v_add_f32_e32 v23, v29, v23
	v_fmamk_f32 v29, v21, 0xbe8c1d8e, v26
	v_mul_f32_e32 v74, 0x3eb8f4ab, v20
	v_fma_f32 v26, 0xbe8c1d8e, v21, -v26
	v_add_f32_e32 v76, v79, v76
	v_add_f32_e32 v35, v35, v37
	;; [unrolled: 1-line block ×4, first 2 shown]
	v_fmamk_f32 v36, v21, 0x3f6eb680, v74
	v_mul_f32_e32 v37, 0xbf65296c, v20
	v_fma_f32 v70, 0x3f6eb680, v21, -v74
	v_add_f32_e32 v26, v32, v26
	v_mul_f32_e32 v32, 0xbf06c442, v20
	v_add_f32_e32 v77, v87, v77
	v_add_f32_e32 v36, v76, v36
	v_fmamk_f32 v74, v21, 0x3ee437d1, v37
	v_add_f32_e32 v70, v71, v70
	v_fma_f32 v37, 0x3ee437d1, v21, -v37
	v_fmamk_f32 v71, v21, 0xbf59a7d5, v32
	v_mul_f32_e32 v76, 0x3f4c4adb, v20
	v_add_f32_e32 v22, v77, v22
	v_mul_f32_e32 v20, 0x3f2c7751, v20
	v_add_f32_e32 v33, v33, v37
	v_add_f32_e32 v37, v72, v71
	v_fmamk_f32 v71, v21, 0xbf1a4643, v76
	v_sub_f32_e32 v16, v16, v18
	v_fma_f32 v18, 0xbf1a4643, v21, -v76
	v_add_f32_e32 v17, v17, v19
	v_fma_f32 v32, 0xbf59a7d5, v21, -v32
	v_add_f32_e32 v22, v22, v71
	v_fmamk_f32 v71, v21, 0x3f3d2fb0, v20
	v_mul_f32_e32 v19, 0xbf763a35, v16
	v_fma_f32 v20, 0x3f3d2fb0, v21, -v20
	v_add_f32_e32 v18, v27, v18
	v_mul_f32_e32 v27, 0x3f06c442, v16
	v_add_f32_e32 v21, v28, v71
	v_fmamk_f32 v28, v17, 0xbe8c1d8e, v19
	v_fma_f32 v19, 0xbe8c1d8e, v17, -v19
	v_add_f32_e32 v20, v25, v20
	v_mul_f32_e32 v25, 0x3f2c7751, v16
	v_fmamk_f32 v71, v17, 0xbf59a7d5, v27
	v_add_f32_e32 v28, v30, v28
	v_add_f32_e32 v19, v23, v19
	v_fma_f32 v23, 0xbf59a7d5, v17, -v27
	v_fmamk_f32 v27, v17, 0x3f3d2fb0, v25
	v_add_f32_e32 v30, v35, v71
	v_mul_f32_e32 v35, 0xbf65296c, v16
	v_fma_f32 v25, 0x3f3d2fb0, v17, -v25
	v_add_f32_e32 v23, v34, v23
	v_add_f32_e32 v27, v29, v27
	v_mul_f32_e32 v29, 0xbe3c28d5, v16
	v_fmamk_f32 v34, v17, 0x3ee437d1, v35
	v_add_f32_e32 v25, v26, v25
	v_fma_f32 v26, 0x3ee437d1, v17, -v35
	v_mul_f32_e32 v35, 0x3f7ee86f, v16
	v_fmamk_f32 v71, v17, 0xbf7ba420, v29
	v_fma_f32 v29, 0xbf7ba420, v17, -v29
	v_add_f32_e32 v32, v73, v32
	v_add_f32_e32 v34, v36, v34
	v_fmamk_f32 v36, v17, 0x3dbcf732, v35
	v_fma_f32 v35, 0x3dbcf732, v17, -v35
	v_add_f32_e32 v29, v33, v29
	v_mul_f32_e32 v33, 0xbeb8f4ab, v16
	v_mul_f32_e32 v16, 0xbf4c4adb, v16
	v_sub_f32_e32 v12, v12, v14
	v_add_f32_e32 v32, v32, v35
	v_add_f32_e32 v13, v13, v15
	v_fmamk_f32 v14, v17, 0x3f6eb680, v33
	v_fmamk_f32 v35, v17, 0xbf1a4643, v16
	v_mul_f32_e32 v15, 0xbf4c4adb, v12
	v_fma_f32 v16, 0xbf1a4643, v17, -v16
	v_fma_f32 v33, 0x3f6eb680, v17, -v33
	v_add_f32_e32 v14, v22, v14
	v_add_f32_e32 v17, v21, v35
	v_fmamk_f32 v21, v13, 0xbf1a4643, v15
	v_mul_f32_e32 v22, 0x3f763a35, v12
	v_fma_f32 v15, 0xbf1a4643, v13, -v15
	v_add_f32_e32 v16, v20, v16
	v_mul_f32_e32 v20, 0xbeb8f4ab, v12
	v_add_f32_e32 v21, v28, v21
	v_fmamk_f32 v28, v13, 0xbe8c1d8e, v22
	v_add_f32_e32 v15, v19, v15
	v_fma_f32 v19, 0xbe8c1d8e, v13, -v22
	v_fmamk_f32 v22, v13, 0x3f6eb680, v20
	v_add_f32_e32 v18, v18, v33
	v_mul_f32_e32 v33, 0xbf06c442, v12
	v_fma_f32 v20, 0x3f6eb680, v13, -v20
	v_add_f32_e32 v19, v23, v19
	v_add_f32_e32 v22, v27, v22
	v_mul_f32_e32 v27, 0x3f7ee86f, v12
	v_fmamk_f32 v23, v13, 0xbf59a7d5, v33
	v_add_f32_e32 v20, v25, v20
	v_fma_f32 v25, 0xbf59a7d5, v13, -v33
	v_add_f32_e32 v26, v70, v26
	v_fmamk_f32 v33, v13, 0x3dbcf732, v27
	v_fma_f32 v27, 0x3dbcf732, v13, -v27
	v_add_f32_e32 v28, v30, v28
	v_mul_f32_e32 v30, 0xbf2c7751, v12
	v_sub_f32_e32 v8, v8, v10
	v_add_f32_e32 v25, v26, v25
	v_add_f32_e32 v27, v29, v27
	v_mul_f32_e32 v29, 0xbe3c28d5, v12
	v_fmamk_f32 v26, v13, 0x3f3d2fb0, v30
	v_fma_f32 v30, 0x3f3d2fb0, v13, -v30
	v_mul_f32_e32 v10, 0x3f65296c, v12
	v_add_f32_e32 v9, v9, v11
	v_fmamk_f32 v12, v13, 0xbf7ba420, v29
	v_fma_f32 v29, 0xbf7ba420, v13, -v29
	v_mul_f32_e32 v11, 0xbf06c442, v8
	v_add_f32_e32 v30, v32, v30
	v_fmamk_f32 v32, v13, 0x3ee437d1, v10
	v_add_f32_e32 v12, v14, v12
	v_fma_f32 v10, 0x3ee437d1, v13, -v10
	v_add_f32_e32 v13, v18, v29
	v_fmamk_f32 v14, v9, 0xbf59a7d5, v11
	v_mul_f32_e32 v18, 0x3f65296c, v8
	v_fma_f32 v11, 0xbf59a7d5, v9, -v11
	v_add_f32_e32 v23, v34, v23
	v_add_f32_e32 v10, v16, v10
	;; [unrolled: 1-line block ×3, first 2 shown]
	v_fmamk_f32 v21, v9, 0x3ee437d1, v18
	v_fma_f32 v18, 0x3ee437d1, v9, -v18
	v_add_f32_e32 v11, v15, v11
	v_mul_f32_e32 v15, 0x3f4c4adb, v8
	v_mul_f32_e32 v16, 0xbf7ee86f, v8
	v_add_f32_e32 v21, v28, v21
	v_add_f32_e32 v18, v19, v18
	v_mul_f32_e32 v28, 0xbeb8f4ab, v8
	v_fmamk_f32 v19, v9, 0xbf1a4643, v15
	v_fma_f32 v15, 0xbf1a4643, v9, -v15
	v_add_f32_e32 v80, v85, v80
	v_fmamk_f32 v29, v9, 0x3dbcf732, v16
	v_fma_f32 v16, 0x3dbcf732, v9, -v16
	v_add_f32_e32 v19, v23, v19
	v_fmamk_f32 v23, v9, 0x3f6eb680, v28
	v_add_f32_e32 v15, v25, v15
	v_fma_f32 v25, 0x3f6eb680, v9, -v28
	v_mul_f32_e32 v28, 0x3f2c7751, v8
	v_add_f32_e32 v79, v80, v81
	v_add_f32_e32 v16, v20, v16
	v_mul_f32_e32 v20, 0xbe3c28d5, v8
	v_add_f32_e32 v25, v27, v25
	v_fmamk_f32 v27, v9, 0x3f3d2fb0, v28
	v_mul_f32_e32 v8, 0xbf763a35, v8
	v_sub_f32_e32 v0, v0, v2
	v_add_f32_e32 v74, v79, v74
	v_add_f32_e32 v17, v17, v32
	;; [unrolled: 1-line block ×3, first 2 shown]
	v_fma_f32 v12, 0x3f3d2fb0, v9, -v28
	v_add_f32_e32 v22, v22, v29
	v_fmamk_f32 v29, v9, 0xbf7ba420, v20
	v_fma_f32 v20, 0xbf7ba420, v9, -v20
	v_fmamk_f32 v27, v9, 0xbe8c1d8e, v8
	v_add_f32_e32 v1, v1, v3
	v_mul_f32_e32 v3, 0xbe3c28d5, v0
	v_fma_f32 v8, 0xbe8c1d8e, v9, -v8
	v_add_f32_e32 v9, v13, v12
	v_mul_f32_e32 v12, 0x3eb8f4ab, v0
	v_add_f32_e32 v70, v74, v71
	v_add_f32_e32 v13, v17, v27
	v_fmamk_f32 v17, v1, 0xbf7ba420, v3
	v_add_f32_e32 v8, v10, v8
	v_fma_f32 v3, 0xbf7ba420, v1, -v3
	v_fmamk_f32 v10, v1, 0x3f6eb680, v12
	v_mul_f32_e32 v27, 0xbf06c442, v0
	v_fma_f32 v12, 0x3f6eb680, v1, -v12
	v_add_f32_e32 v33, v70, v33
	v_add_f32_e32 v14, v14, v17
	;; [unrolled: 1-line block ×4, first 2 shown]
	v_fmamk_f32 v11, v1, 0xbf59a7d5, v27
	v_mul_f32_e32 v17, 0x3f2c7751, v0
	v_add_f32_e32 v12, v18, v12
	v_fma_f32 v18, 0xbf59a7d5, v1, -v27
	v_mul_f32_e32 v21, 0xbf4c4adb, v0
	v_add_f32_e32 v36, v37, v36
	v_add_f32_e32 v23, v33, v23
	v_add_f32_e32 v11, v22, v11
	v_fmamk_f32 v22, v1, 0x3f3d2fb0, v17
	v_add_f32_e32 v16, v16, v18
	v_fmamk_f32 v18, v1, 0xbf1a4643, v21
	v_mul_f32_e32 v27, 0x3f65296c, v0
	v_fma_f32 v17, 0x3f3d2fb0, v1, -v17
	v_add_f32_e32 v26, v36, v26
	v_add_f32_e32 v20, v30, v20
	;; [unrolled: 1-line block ×4, first 2 shown]
	v_fma_f32 v22, 0x3ee437d1, v1, -v27
	v_mul_f32_e32 v23, 0xbf763a35, v0
	v_add_f32_e32 v15, v15, v17
	v_fma_f32 v17, 0xbf1a4643, v1, -v21
	v_mul_f32_e32 v0, 0x3f7ee86f, v0
	v_add_f32_e32 v26, v26, v29
	v_fmamk_f32 v21, v1, 0x3ee437d1, v27
	v_add_f32_e32 v20, v20, v22
	v_fmamk_f32 v22, v1, 0xbe8c1d8e, v23
	;; [unrolled: 2-line block ×3, first 2 shown]
	v_fma_f32 v0, 0x3dbcf732, v1, -v0
	v_fma_f32 v23, 0xbe8c1d8e, v1, -v23
	v_mad_u32_u24 v1, 0x44, v64, 0
	v_add_f32_e32 v21, v26, v21
	v_add_f32_e32 v2, v2, v22
	;; [unrolled: 1-line block ×5, first 2 shown]
	ds_write2_b32 v1, v31, v14 offset1:1
	ds_write2_b32 v1, v10, v11 offset0:2 offset1:3
	ds_write2_b32 v1, v19, v18 offset0:4 offset1:5
	;; [unrolled: 1-line block ×7, first 2 shown]
	ds_write_b32 v1, v3 offset:64
.LBB0_17:
	s_or_b32 exec_lo, exec_lo, s1
	v_and_b32_e32 v0, 0xff, v4
	v_and_b32_e32 v2, 0xff, v64
	v_mov_b32_e32 v3, 4
	s_waitcnt lgkmcnt(0)
	s_barrier
	v_mul_lo_u16 v0, 0xf1, v0
	buffer_gl0_inv
	v_add_nc_u32_e32 v36, 0x198, v4
	v_add_nc_u32_e32 v37, 0x165, v4
	;; [unrolled: 1-line block ×3, first 2 shown]
	v_lshrrev_b16 v0, 12, v0
	v_add_nc_u32_e32 v72, 0x66, v4
	v_add_nc_u32_e32 v73, 0x99, v4
	;; [unrolled: 1-line block ×4, first 2 shown]
	v_mul_lo_u16 v1, v0, 17
	v_and_b32_e32 v96, 0xff, v72
	v_sub_nc_u16 v35, v4, v1
	v_mul_lo_u16 v1, 0xf1, v2
	v_lshlrev_b32_sdwa v2, v3, v35 dst_sel:DWORD dst_unused:UNUSED_PAD src0_sel:DWORD src1_sel:BYTE_0
	v_lshrrev_b16 v88, 12, v1
	global_load_dwordx4 v[8:11], v2, s[8:9]
	v_mul_lo_u16 v1, v88, 17
	v_mov_b32_e32 v2, 0xf0f1
	v_sub_nc_u16 v89, v64, v1
	v_mul_u32_u24_sdwa v1, v36, v2 dst_sel:DWORD dst_unused:UNUSED_PAD src0_sel:WORD_0 src1_sel:DWORD
	v_mul_u32_u24_sdwa v20, v74, v2 dst_sel:DWORD dst_unused:UNUSED_PAD src0_sel:WORD_0 src1_sel:DWORD
	v_lshlrev_b32_sdwa v12, v3, v89 dst_sel:DWORD dst_unused:UNUSED_PAD src0_sel:DWORD src1_sel:BYTE_0
	v_lshrrev_b32_e32 v90, 20, v1
	v_lshrrev_b32_e32 v94, 20, v20
	global_load_dwordx4 v[12:15], v12, s[8:9]
	v_mul_lo_u16 v1, v90, 17
	v_mul_lo_u16 v25, v94, 17
	v_mul_u32_u24_e32 v90, 0xcc, v90
	v_sub_nc_u16 v91, v36, v1
	v_mul_u32_u24_sdwa v1, v37, v2 dst_sel:DWORD dst_unused:UNUSED_PAD src0_sel:WORD_0 src1_sel:DWORD
	v_sub_nc_u16 v95, v74, v25
	v_lshlrev_b32_sdwa v16, v3, v91 dst_sel:DWORD dst_unused:UNUSED_PAD src0_sel:DWORD src1_sel:WORD_0
	v_lshrrev_b32_e32 v92, 20, v1
	global_load_dwordx4 v[16:19], v16, s[8:9]
	v_mul_lo_u16 v1, v92, 17
	v_mul_u32_u24_e32 v92, 0xcc, v92
	v_sub_nc_u16 v93, v37, v1
	v_lshlrev_b32_sdwa v1, v3, v93 dst_sel:DWORD dst_unused:UNUSED_PAD src0_sel:DWORD src1_sel:WORD_0
	global_load_dwordx4 v[20:23], v1, s[8:9]
	v_lshlrev_b32_sdwa v1, v3, v95 dst_sel:DWORD dst_unused:UNUSED_PAD src0_sel:DWORD src1_sel:WORD_0
	global_load_dwordx4 v[25:28], v1, s[8:9]
	v_mul_lo_u16 v1, 0xf1, v96
	v_lshrrev_b16 v97, 12, v1
	v_and_b32_e32 v1, 0xff, v73
	v_mul_lo_u16 v29, v97, 17
	v_mul_lo_u16 v1, 0xf1, v1
	v_sub_nc_u16 v98, v72, v29
	v_and_b32_e32 v29, 0xff, v71
	v_lshrrev_b16 v99, 12, v1
	v_lshlrev_b32_sdwa v1, v3, v98 dst_sel:DWORD dst_unused:UNUSED_PAD src0_sel:DWORD src1_sel:BYTE_0
	v_mul_lo_u16 v33, 0xf1, v29
	v_mul_lo_u16 v34, v99, 17
	global_load_dwordx4 v[29:32], v1, s[8:9]
	v_lshrrev_b16 v100, 12, v33
	v_mul_u32_u24_sdwa v1, v70, v2 dst_sel:DWORD dst_unused:UNUSED_PAD src0_sel:WORD_0 src1_sel:DWORD
	v_sub_nc_u16 v101, v73, v34
	v_mul_lo_u16 v2, v100, 17
	v_lshrrev_b32_e32 v102, 20, v1
	v_lshlrev_b32_sdwa v1, v3, v101 dst_sel:DWORD dst_unused:UNUSED_PAD src0_sel:DWORD src1_sel:BYTE_0
	v_sub_nc_u16 v103, v71, v2
	v_mul_lo_u16 v2, v102, 17
	global_load_dwordx4 v[76:79], v1, s[8:9]
	v_lshlrev_b32_sdwa v1, v3, v103 dst_sel:DWORD dst_unused:UNUSED_PAD src0_sel:DWORD src1_sel:BYTE_0
	v_sub_nc_u16 v104, v70, v2
	global_load_dwordx4 v[80:83], v1, s[8:9]
	v_lshlrev_b32_sdwa v1, v3, v104 dst_sel:DWORD dst_unused:UNUSED_PAD src0_sel:DWORD src1_sel:WORD_0
	global_load_dwordx4 v[84:87], v1, s[8:9]
	ds_read2_b32 v[2:3], v66 offset0:152 offset1:203
	ds_read2_b32 v[33:34], v65 offset0:150 offset1:201
	s_waitcnt vmcnt(8) lgkmcnt(1)
	v_mul_f32_e32 v1, v3, v9
	v_mul_f32_e32 v105, v39, v9
	s_waitcnt lgkmcnt(0)
	v_mul_f32_e32 v9, v33, v11
	v_mul_f32_e32 v106, v62, v11
	v_fma_f32 v39, v39, v8, -v1
	v_fmac_f32_e32 v105, v3, v8
	v_fma_f32 v107, v62, v10, -v9
	v_fmac_f32_e32 v106, v33, v10
	ds_read2_b32 v[9:10], v67 offset0:126 offset1:177
	ds_read_b32 v8, v5 offset:5304
	s_waitcnt vmcnt(7)
	v_mul_f32_e32 v1, v34, v15
	v_mul_f32_e32 v108, v63, v15
	;; [unrolled: 1-line block ×3, first 2 shown]
	v_fma_f32 v109, v63, v14, -v1
	ds_read2_b32 v[62:63], v65 offset0:48 offset1:99
	v_fmac_f32_e32 v108, v34, v14
	s_waitcnt lgkmcnt(2)
	v_mul_f32_e32 v1, v9, v13
	v_fmac_f32_e32 v110, v9, v12
	ds_read2_b32 v[13:14], v68 offset0:202 offset1:253
	s_waitcnt vmcnt(6) lgkmcnt(2)
	v_mul_f32_e32 v3, v8, v19
	v_fma_f32 v56, v56, v12, -v1
	ds_read2_b32 v[11:12], v69 offset0:200 offset1:251
	v_mul_f32_e32 v1, v75, v19
	v_mov_b32_e32 v19, 2
	v_fma_f32 v3, v75, v18, -v3
	v_mul_f32_e32 v75, v61, v17
	v_fmac_f32_e32 v1, v8, v18
	v_lshlrev_b32_sdwa v34, v19, v95 dst_sel:DWORD dst_unused:UNUSED_PAD src0_sel:DWORD src1_sel:WORD_0
	s_waitcnt lgkmcnt(2)
	v_mul_f32_e32 v9, v63, v17
	v_fmac_f32_e32 v75, v63, v16
	v_fma_f32 v61, v61, v16, -v9
	s_waitcnt vmcnt(5)
	v_mul_f32_e32 v8, v62, v21
	v_mul_f32_e32 v21, v60, v21
	;; [unrolled: 1-line block ×3, first 2 shown]
	ds_read2_b32 v[15:16], v5 offset1:51
	v_fma_f32 v60, v60, v20, -v8
	s_waitcnt lgkmcnt(1)
	v_mul_f32_e32 v9, v12, v23
	s_waitcnt vmcnt(4)
	v_mul_f32_e32 v111, v51, v26
	v_fmac_f32_e32 v21, v62, v20
	v_lshlrev_b32_e32 v8, 3, v4
	v_fmac_f32_e32 v63, v12, v22
	v_fma_f32 v59, v59, v22, -v9
	v_mul_f32_e32 v12, v11, v28
	v_mov_b32_e32 v9, 0
	v_mul_f32_e32 v62, v58, v28
	v_mul_f32_e32 v17, v14, v26
	v_fmac_f32_e32 v111, v14, v25
	v_mov_b32_e32 v14, 0xcc
	v_fma_f32 v58, v58, v27, -v12
	v_fmac_f32_e32 v62, v11, v27
	v_lshlrev_b64 v[11:12], 3, v[8:9]
	v_fma_f32 v8, v51, v25, -v17
	v_mul_u32_u24_sdwa v0, v0, v14 dst_sel:DWORD dst_unused:UNUSED_PAD src0_sel:WORD_0 src1_sel:DWORD
	v_lshlrev_b32_sdwa v17, v19, v35 dst_sel:DWORD dst_unused:UNUSED_PAD src0_sel:DWORD src1_sel:BYTE_0
	v_mul_u32_u24_sdwa v20, v88, v14 dst_sel:DWORD dst_unused:UNUSED_PAD src0_sel:WORD_0 src1_sel:DWORD
	v_lshlrev_b32_sdwa v26, v19, v89 dst_sel:DWORD dst_unused:UNUSED_PAD src0_sel:DWORD src1_sel:BYTE_0
	v_mul_u32_u24_sdwa v27, v97, v14 dst_sel:DWORD dst_unused:UNUSED_PAD src0_sel:WORD_0 src1_sel:DWORD
	v_mul_u32_u24_e32 v25, 0xcc, v94
	v_add3_u32 v35, 0, v0, v17
	ds_read2_b32 v[17:18], v24 offset0:124 offset1:175
	v_mul_u32_u24_e32 v0, 0xcc, v102
	v_lshlrev_b32_sdwa v28, v19, v104 dst_sel:DWORD dst_unused:UNUSED_PAD src0_sel:DWORD src1_sel:WORD_0
	v_lshlrev_b32_sdwa v51, v19, v93 dst_sel:DWORD dst_unused:UNUSED_PAD src0_sel:DWORD src1_sel:WORD_0
	;; [unrolled: 1-line block ×3, first 2 shown]
	v_add3_u32 v89, 0, v20, v26
	v_lshlrev_b32_sdwa v91, v19, v98 dst_sel:DWORD dst_unused:UNUSED_PAD src0_sel:DWORD src1_sel:BYTE_0
	v_lshlrev_b32_sdwa v93, v19, v101 dst_sel:DWORD dst_unused:UNUSED_PAD src0_sel:DWORD src1_sel:BYTE_0
	;; [unrolled: 1-line block ×3, first 2 shown]
	ds_read2_b32 v[19:20], v68 offset0:100 offset1:151
	v_add3_u32 v95, 0, v0, v28
	v_mul_lo_u16 v0, 0xa1, v96
	v_add3_u32 v88, 0, v90, v88
	v_add3_u32 v90, 0, v27, v91
	ds_read2_b32 v[27:28], v69 offset0:98 offset1:149
	v_mul_u32_u24_sdwa v33, v99, v14 dst_sel:DWORD dst_unused:UNUSED_PAD src0_sel:WORD_0 src1_sel:DWORD
	v_add3_u32 v97, 0, v25, v34
	s_waitcnt vmcnt(3)
	v_mul_f32_e32 v34, v10, v30
	v_lshrrev_b16 v0, 13, v0
	v_mul_f32_e32 v30, v57, v30
	v_add3_u32 v91, 0, v33, v93
	v_add_co_u32 v22, s0, s8, v11
	v_fma_f32 v57, v57, v29, -v34
	ds_read2_b32 v[33:34], v66 offset0:50 offset1:101
	v_add_co_ci_u32_e64 v23, s0, s9, v12, s0
	ds_read2_b32 v[11:12], v5 offset0:102 offset1:153
	v_add3_u32 v51, 0, v92, v51
	v_mul_lo_u16 v92, v0, 51
	v_fmac_f32_e32 v30, v10, v29
	s_waitcnt lgkmcnt(4)
	v_mul_f32_e32 v0, v17, v32
	v_mul_f32_e32 v10, v54, v32
	ds_read2_b32 v[25:26], v5 offset0:204 offset1:255
	s_waitcnt vmcnt(2)
	v_mul_f32_e32 v29, v18, v79
	v_mul_f32_e32 v32, v55, v79
	v_fma_f32 v0, v54, v31, -v0
	v_fmac_f32_e32 v10, v17, v31
	s_waitcnt lgkmcnt(4)
	v_mul_f32_e32 v17, v19, v77
	v_mul_f32_e32 v31, v52, v77
	s_waitcnt vmcnt(1)
	v_mul_f32_e32 v54, v20, v81
	v_fma_f32 v29, v55, v78, -v29
	v_mul_f32_e32 v55, v53, v81
	s_waitcnt lgkmcnt(3)
	v_mul_f32_e32 v77, v27, v83
	v_fma_f32 v17, v52, v76, -v17
	v_fmac_f32_e32 v31, v19, v76
	s_waitcnt vmcnt(0)
	v_mul_f32_e32 v19, v50, v85
	v_mul_f32_e32 v52, v28, v87
	v_mul_u32_u24_sdwa v14, v100, v14 dst_sel:DWORD dst_unused:UNUSED_PAD src0_sel:WORD_0 src1_sel:DWORD
	v_fmac_f32_e32 v32, v18, v78
	v_mul_f32_e32 v18, v48, v83
	v_mul_f32_e32 v78, v13, v85
	;; [unrolled: 1-line block ×3, first 2 shown]
	v_fma_f32 v53, v53, v80, -v54
	v_fmac_f32_e32 v55, v20, v80
	v_fma_f32 v20, v48, v82, -v77
	v_fmac_f32_e32 v19, v13, v84
	v_fma_f32 v13, v49, v86, -v52
	v_add_f32_e32 v52, v105, v106
	v_add_f32_e32 v77, v56, v109
	;; [unrolled: 1-line block ×4, first 2 shown]
	v_add3_u32 v14, 0, v14, v94
	v_fmac_f32_e32 v18, v27, v82
	v_fma_f32 v27, v50, v84, -v78
	v_fmac_f32_e32 v76, v28, v86
	v_add_f32_e32 v48, v39, v107
	v_add_f32_e32 v81, v42, v8
	s_waitcnt lgkmcnt(2)
	v_add_f32_e32 v84, v33, v111
	v_add_f32_e32 v86, v43, v60
	;; [unrolled: 1-line block ×11, first 2 shown]
	v_sub_f32_e32 v93, v21, v63
	v_add_f32_e32 v21, v21, v63
	v_sub_f32_e32 v99, v75, v1
	v_add_f32_e32 v75, v75, v1
	v_fma_f32 v15, -0.5, v52, v15
	v_fmac_f32_e32 v41, -0.5, v77
	v_add_f32_e32 v52, v79, v108
	v_fmac_f32_e32 v16, -0.5, v80
	v_add_f32_e32 v77, v57, v0
	v_sub_f32_e32 v79, v30, v10
	s_waitcnt lgkmcnt(1)
	v_add_f32_e32 v80, v11, v30
	v_add_f32_e32 v30, v30, v10
	v_add_f32_e32 v102, v17, v29
	v_add_f32_e32 v28, v40, v39
	v_sub_f32_e32 v49, v105, v106
	v_sub_f32_e32 v39, v39, v107
	;; [unrolled: 1-line block ×6, first 2 shown]
	v_fma_f32 v40, -0.5, v48, v40
	v_sub_f32_e32 v103, v31, v32
	v_add_f32_e32 v58, v81, v58
	v_add_f32_e32 v81, v12, v31
	;; [unrolled: 1-line block ×7, first 2 shown]
	v_fmac_f32_e32 v43, -0.5, v87
	v_sub_f32_e32 v86, v55, v18
	v_add_f32_e32 v87, v94, v63
	s_waitcnt lgkmcnt(0)
	v_add_f32_e32 v63, v25, v55
	v_add_f32_e32 v55, v55, v18
	;; [unrolled: 1-line block ×4, first 2 shown]
	v_fmac_f32_e32 v38, -0.5, v98
	v_sub_f32_e32 v96, v19, v76
	v_add_f32_e32 v98, v100, v1
	v_add_f32_e32 v1, v26, v19
	;; [unrolled: 1-line block ×3, first 2 shown]
	v_sub_f32_e32 v78, v110, v108
	v_sub_f32_e32 v56, v56, v109
	v_add_f32_e32 v48, v50, v106
	v_add_f32_e32 v50, v54, v109
	;; [unrolled: 1-line block ×3, first 2 shown]
	v_sub_f32_e32 v57, v57, v0
	v_add_f32_e32 v101, v47, v17
	v_fmac_f32_e32 v34, -0.5, v21
	v_add_f32_e32 v21, v45, v27
	v_fma_f32 v42, -0.5, v82, v42
	v_fma_f32 v33, -0.5, v85, v33
	v_fmac_f32_e32 v2, -0.5, v75
	v_fma_f32 v46, -0.5, v77, v46
	v_fma_f32 v30, -0.5, v30, v11
	v_fmac_f32_e32 v47, -0.5, v102
	v_add_f32_e32 v28, v28, v107
	v_sub_f32_e32 v17, v17, v29
	v_sub_f32_e32 v53, v53, v20
	;; [unrolled: 1-line block ×3, first 2 shown]
	v_fmamk_f32 v75, v49, 0x3f5db3d7, v40
	v_fmac_f32_e32 v40, 0xbf5db3d7, v49
	v_fmamk_f32 v49, v39, 0xbf5db3d7, v15
	v_fmac_f32_e32 v12, -0.5, v31
	v_add_f32_e32 v11, v62, v20
	v_fma_f32 v20, -0.5, v84, v44
	v_fma_f32 v25, -0.5, v55, v25
	v_fmac_f32_e32 v45, -0.5, v94
	v_fmac_f32_e32 v26, -0.5, v19
	v_fmac_f32_e32 v15, 0x3f5db3d7, v39
	v_fmamk_f32 v39, v78, 0x3f5db3d7, v41
	v_fmamk_f32 v100, v56, 0xbf5db3d7, v16
	v_fmac_f32_e32 v41, 0xbf5db3d7, v78
	v_fmac_f32_e32 v16, 0x3f5db3d7, v56
	v_add_f32_e32 v0, v54, v0
	v_add_f32_e32 v105, v80, v10
	;; [unrolled: 1-line block ×5, first 2 shown]
	v_fmamk_f32 v1, v83, 0x3f5db3d7, v42
	v_fmamk_f32 v19, v8, 0xbf5db3d7, v33
	v_fmac_f32_e32 v33, 0x3f5db3d7, v8
	v_fmamk_f32 v8, v93, 0x3f5db3d7, v43
	v_fmac_f32_e32 v43, 0xbf5db3d7, v93
	v_fmamk_f32 v44, v61, 0xbf5db3d7, v2
	v_fmac_f32_e32 v2, 0x3f5db3d7, v61
	v_fmamk_f32 v54, v79, 0x3f5db3d7, v46
	v_fmamk_f32 v93, v57, 0xbf5db3d7, v30
	;; [unrolled: 1-line block ×3, first 2 shown]
	s_barrier
	buffer_gl0_inv
	v_add_f32_e32 v29, v81, v32
	v_add_f32_e32 v18, v63, v18
	v_fmac_f32_e32 v42, 0xbf5db3d7, v83
	v_fmamk_f32 v31, v60, 0xbf5db3d7, v34
	v_fmac_f32_e32 v34, 0x3f5db3d7, v60
	v_fmamk_f32 v32, v99, 0x3f5db3d7, v38
	v_fmac_f32_e32 v38, 0xbf5db3d7, v99
	v_fmac_f32_e32 v46, 0xbf5db3d7, v79
	;; [unrolled: 1-line block ×4, first 2 shown]
	v_fmamk_f32 v94, v17, 0xbf5db3d7, v12
	v_fmac_f32_e32 v12, 0x3f5db3d7, v17
	v_fmamk_f32 v17, v86, 0x3f5db3d7, v20
	v_fmac_f32_e32 v20, 0xbf5db3d7, v86
	;; [unrolled: 2-line block ×5, first 2 shown]
	ds_write2_b32 v35, v28, v75 offset1:17
	ds_write_b32 v35, v40 offset:136
	ds_write2_b32 v89, v50, v39 offset1:17
	ds_write_b32 v89, v41 offset:136
	;; [unrolled: 2-line block ×9, first 2 shown]
	s_waitcnt lgkmcnt(0)
	s_barrier
	buffer_gl0_inv
	ds_read2_b32 v[10:11], v5 offset1:51
	ds_read2_b32 v[0:1], v5 offset0:102 offset1:153
	ds_read2_b32 v[54:55], v66 offset0:50 offset1:101
	;; [unrolled: 1-line block ×12, first 2 shown]
	ds_read_b32 v103, v5 offset:5304
	s_waitcnt lgkmcnt(0)
	s_barrier
	buffer_gl0_inv
	ds_write2_b32 v35, v48, v49 offset1:17
	ds_write_b32 v35, v15 offset:136
	ds_write2_b32 v89, v52, v100 offset1:17
	ds_write_b32 v89, v16 offset:136
	;; [unrolled: 2-line block ×9, first 2 shown]
	v_sub_nc_u16 v2, v72, v92
	s_waitcnt lgkmcnt(0)
	s_barrier
	buffer_gl0_inv
	global_load_dwordx4 v[14:17], v[22:23], off offset:272
	v_and_b32_e32 v8, 0xff, v2
	v_lshlrev_b32_e32 v2, 6, v8
	s_clause 0x6
	global_load_dwordx4 v[18:21], v2, s[8:9] offset:272
	global_load_dwordx4 v[25:28], v[22:23], off offset:288
	global_load_dwordx4 v[29:32], v[22:23], off offset:304
	;; [unrolled: 1-line block ×3, first 2 shown]
	global_load_dwordx4 v[42:45], v2, s[8:9] offset:288
	global_load_dwordx4 v[46:49], v2, s[8:9] offset:304
	;; [unrolled: 1-line block ×3, first 2 shown]
	ds_read2_b32 v[22:23], v66 offset0:50 offset1:101
	ds_read2_b32 v[2:3], v5 offset0:102 offset1:153
	;; [unrolled: 1-line block ×3, first 2 shown]
	ds_read2_b32 v[12:13], v5 offset1:51
	ds_read2_b32 v[87:88], v66 offset0:152 offset1:203
	ds_read2_b32 v[89:90], v68 offset0:100 offset1:151
	;; [unrolled: 1-line block ×8, first 2 shown]
	v_lshl_add_u32 v8, v8, 2, 0
	s_waitcnt vmcnt(7) lgkmcnt(11)
	v_mul_f32_e32 v35, v22, v17
	v_mul_f32_e32 v104, v23, v17
	s_waitcnt lgkmcnt(10)
	v_mul_f32_e32 v105, v3, v15
	v_mul_f32_e32 v106, v54, v17
	;; [unrolled: 1-line block ×3, first 2 shown]
	v_fma_f32 v35, v54, v16, -v35
	v_fma_f32 v54, v55, v16, -v104
	v_mul_f32_e32 v55, v1, v15
	v_fma_f32 v105, v1, v14, -v105
	s_waitcnt vmcnt(6) lgkmcnt(7)
	v_mul_f32_e32 v1, v87, v21
	v_fmac_f32_e32 v106, v22, v16
	v_fmac_f32_e32 v107, v23, v16
	v_mul_f32_e32 v104, v79, v15
	ds_read2_b32 v[22:23], v69 offset0:98 offset1:149
	v_mul_f32_e32 v21, v56, v21
	v_fma_f32 v56, v56, v20, -v1
	s_waitcnt vmcnt(5) lgkmcnt(7)
	v_mul_f32_e32 v1, v89, v28
	v_mul_f32_e32 v17, v33, v15
	;; [unrolled: 1-line block ×3, first 2 shown]
	v_fmac_f32_e32 v104, v33, v14
	v_mul_f32_e32 v19, v80, v19
	ds_read_b32 v33, v5 offset:5304
	v_fmac_f32_e32 v21, v87, v20
	v_mul_f32_e32 v20, v58, v28
	v_fma_f32 v58, v58, v27, -v1
	s_waitcnt lgkmcnt(3)
	v_mul_f32_e32 v1, v99, v26
	v_fmac_f32_e32 v55, v3, v14
	v_fmac_f32_e32 v19, v34, v18
	v_mul_f32_e32 v3, v88, v26
	v_mul_f32_e32 v34, v57, v26
	;; [unrolled: 1-line block ×3, first 2 shown]
	v_fma_f32 v81, v81, v25, -v1
	s_waitcnt vmcnt(4)
	v_mul_f32_e32 v1, v94, v32
	v_fma_f32 v79, v79, v14, -v17
	v_fma_f32 v80, v80, v18, -v15
	v_mul_f32_e32 v14, v92, v30
	v_mul_f32_e32 v18, v61, v30
	v_fma_f32 v57, v57, v25, -v3
	v_mul_f32_e32 v3, v93, v32
	v_mul_f32_e32 v15, v90, v28
	;; [unrolled: 1-line block ×5, first 2 shown]
	v_fma_f32 v63, v63, v31, -v1
	s_waitcnt lgkmcnt(2)
	v_mul_f32_e32 v1, v101, v30
	v_mul_f32_e32 v16, v83, v30
	v_fmac_f32_e32 v34, v88, v25
	v_fma_f32 v59, v59, v27, -v15
	v_fmac_f32_e32 v20, v89, v27
	v_fmac_f32_e32 v28, v90, v27
	s_waitcnt vmcnt(3)
	v_mul_f32_e32 v15, v96, v39
	v_mul_f32_e32 v27, v76, v39
	v_fmac_f32_e32 v26, v99, v25
	v_mul_f32_e32 v25, v97, v41
	v_mul_f32_e32 v88, v77, v41
	v_fma_f32 v62, v62, v31, -v3
	v_fmac_f32_e32 v87, v93, v31
	v_fmac_f32_e32 v32, v94, v31
	s_waitcnt lgkmcnt(1)
	v_mul_f32_e32 v30, v22, v39
	v_mul_f32_e32 v31, v85, v39
	v_fma_f32 v39, v61, v29, -v14
	v_fmac_f32_e32 v18, v92, v29
	v_fma_f32 v17, v83, v29, -v1
	v_fmac_f32_e32 v16, v101, v29
	v_mul_f32_e32 v1, v98, v41
	v_mul_f32_e32 v29, v78, v41
	s_waitcnt vmcnt(2)
	v_mul_f32_e32 v14, v100, v43
	v_mul_f32_e32 v41, v82, v43
	v_fma_f32 v25, v77, v40, -v25
	v_fma_f32 v43, v78, v40, -v1
	v_mul_f32_e32 v61, v91, v45
	v_mul_f32_e32 v1, v60, v45
	v_fmac_f32_e32 v88, v97, v40
	v_fmac_f32_e32 v29, v98, v40
	s_waitcnt vmcnt(1)
	v_mul_f32_e32 v40, v102, v47
	v_mul_f32_e32 v3, v84, v47
	v_fma_f32 v45, v76, v38, -v15
	v_fmac_f32_e32 v27, v96, v38
	v_fma_f32 v30, v85, v38, -v30
	v_fmac_f32_e32 v31, v22, v38
	v_mul_f32_e32 v22, v95, v49
	v_mul_f32_e32 v38, v75, v49
	s_waitcnt vmcnt(0)
	v_mul_f32_e32 v47, v23, v51
	v_mul_f32_e32 v49, v86, v51
	s_waitcnt lgkmcnt(0)
	v_mul_f32_e32 v76, v33, v53
	v_mul_f32_e32 v53, v103, v53
	v_fma_f32 v51, v82, v42, -v14
	v_fmac_f32_e32 v41, v100, v42
	v_fma_f32 v15, v60, v44, -v61
	v_fmac_f32_e32 v1, v91, v44
	v_fma_f32 v14, v84, v46, -v40
	v_fma_f32 v40, v86, v50, -v47
	v_fmac_f32_e32 v49, v23, v50
	v_fma_f32 v23, v103, v52, -v76
	v_fmac_f32_e32 v53, v33, v52
	v_add_f32_e32 v33, v105, v25
	v_add_f32_e32 v42, v55, v88
	;; [unrolled: 1-line block ×3, first 2 shown]
	v_sub_f32_e32 v50, v55, v88
	v_sub_f32_e32 v55, v20, v18
	v_fmac_f32_e32 v3, v102, v46
	v_add_f32_e32 v46, v106, v27
	v_add_f32_e32 v47, v57, v62
	v_sub_f32_e32 v25, v105, v25
	v_sub_f32_e32 v35, v35, v45
	;; [unrolled: 1-line block ×5, first 2 shown]
	v_add_f32_e32 v57, v58, v39
	v_add_f32_e32 v60, v20, v18
	;; [unrolled: 1-line block ×3, first 2 shown]
	v_sub_f32_e32 v23, v80, v23
	v_mul_f32_e32 v80, 0x3f248dbb, v50
	v_mul_f32_e32 v91, 0xbf248dbb, v55
	v_add_f32_e32 v96, v44, v33
	v_mul_f32_e32 v99, 0x3f7c1c5c, v55
	v_fma_f32 v22, v75, v48, -v22
	v_fmac_f32_e32 v38, v95, v48
	v_add_f32_e32 v48, v34, v87
	v_sub_f32_e32 v34, v34, v87
	v_add_f32_e32 v61, v79, v43
	v_add_f32_e32 v62, v104, v29
	;; [unrolled: 1-line block ×5, first 2 shown]
	v_sub_f32_e32 v40, v56, v40
	v_mul_f32_e32 v56, 0x3f248dbb, v25
	v_fmamk_f32 v88, v33, 0x3f441b7d, v10
	v_fmamk_f32 v89, v42, 0x3f441b7d, v12
	v_mul_f32_e32 v90, 0xbf248dbb, v52
	v_fmamk_f32 v92, v57, 0x3f441b7d, v10
	v_fmamk_f32 v93, v60, 0x3f441b7d, v12
	v_add_f32_e32 v97, v46, v42
	v_mul_f32_e32 v98, 0x3f7c1c5c, v52
	v_fmamk_f32 v100, v44, 0x3f441b7d, v10
	v_add_f32_e32 v101, v57, v96
	v_fmamk_f32 v102, v46, 0x3f441b7d, v12
	v_fmac_f32_e32 v80, 0x3f7c1c5c, v27
	v_fmac_f32_e32 v91, 0x3f7c1c5c, v50
	v_fma_f32 v99, 0xbf248dbb, v27, -v99
	v_add_f32_e32 v96, v47, v96
	v_add_f32_e32 v77, v81, v63
	;; [unrolled: 1-line block ×3, first 2 shown]
	v_sub_f32_e32 v43, v79, v43
	v_sub_f32_e32 v30, v54, v30
	;; [unrolled: 1-line block ×3, first 2 shown]
	v_add_f32_e32 v79, v59, v17
	v_add_f32_e32 v81, v28, v16
	;; [unrolled: 1-line block ×4, first 2 shown]
	v_fmac_f32_e32 v56, 0x3f7c1c5c, v35
	v_fmac_f32_e32 v90, 0x3f7c1c5c, v25
	v_fma_f32 v98, 0xbf248dbb, v35, -v98
	v_fmac_f32_e32 v80, 0x3f5db3d7, v34
	v_fmac_f32_e32 v91, 0xbf5db3d7, v34
	v_fmac_f32_e32 v99, 0x3f5db3d7, v34
	v_add_f32_e32 v34, v75, v61
	v_add_f32_e32 v58, v58, v96
	;; [unrolled: 1-line block ×3, first 2 shown]
	v_fmac_f32_e32 v88, 0x3e31d0d4, v44
	v_fmac_f32_e32 v89, 0x3e31d0d4, v46
	v_fmac_f32_e32 v92, 0x3e31d0d4, v33
	v_fmac_f32_e32 v100, 0x3e31d0d4, v57
	v_fmac_f32_e32 v93, 0x3e31d0d4, v42
	v_fmac_f32_e32 v102, 0x3e31d0d4, v60
	v_sub_f32_e32 v29, v104, v29
	v_sub_f32_e32 v26, v26, v32
	;; [unrolled: 1-line block ×4, first 2 shown]
	v_add_f32_e32 v94, v10, v47
	v_fmac_f32_e32 v95, -0.5, v105
	v_add_f32_e32 v105, v11, v77
	v_fmac_f32_e32 v56, 0x3f5db3d7, v45
	v_fmac_f32_e32 v90, 0xbf5db3d7, v45
	;; [unrolled: 1-line block ×3, first 2 shown]
	v_add_f32_e32 v45, v13, v78
	v_add_f32_e32 v97, v48, v97
	v_fmac_f32_e32 v88, -0.5, v47
	v_fmac_f32_e32 v92, -0.5, v47
	;; [unrolled: 1-line block ×3, first 2 shown]
	v_add_f32_e32 v47, v79, v34
	v_fmac_f32_e32 v89, -0.5, v48
	v_fmac_f32_e32 v93, -0.5, v48
	;; [unrolled: 1-line block ×3, first 2 shown]
	v_add_f32_e32 v48, v81, v96
	v_sub_f32_e32 v31, v107, v31
	v_mul_f32_e32 v103, 0x3f248dbb, v43
	v_mul_f32_e32 v104, 0x3f248dbb, v29
	v_fmac_f32_e32 v94, -0.5, v101
	v_mul_f32_e32 v101, 0xbf248dbb, v32
	v_add_f32_e32 v20, v20, v97
	v_mul_f32_e32 v97, 0x3f7c1c5c, v32
	v_fmac_f32_e32 v105, -0.5, v47
	v_mul_f32_e32 v47, 0xbf248dbb, v63
	v_fmac_f32_e32 v45, -0.5, v48
	v_mul_f32_e32 v48, 0x3f7c1c5c, v63
	v_fmac_f32_e32 v103, 0x3f7c1c5c, v30
	v_fmac_f32_e32 v101, 0x3f7c1c5c, v43
	v_fma_f32 v97, 0xbf248dbb, v30, -v97
	v_fmac_f32_e32 v104, 0x3f7c1c5c, v31
	v_fmac_f32_e32 v47, 0x3f7c1c5c, v29
	v_fma_f32 v48, 0xbf248dbb, v31, -v48
	v_add_f32_e32 v83, v19, v53
	v_sub_f32_e32 v19, v19, v53
	v_fmac_f32_e32 v103, 0x3f5db3d7, v54
	v_fmac_f32_e32 v101, 0xbf5db3d7, v54
	;; [unrolled: 1-line block ×3, first 2 shown]
	v_add_f32_e32 v54, v52, v25
	v_fmac_f32_e32 v104, 0x3f5db3d7, v26
	v_fmac_f32_e32 v47, 0xbf5db3d7, v26
	;; [unrolled: 1-line block ×3, first 2 shown]
	v_add_f32_e32 v26, v55, v50
	v_add_f32_e32 v85, v21, v49
	;; [unrolled: 1-line block ×3, first 2 shown]
	v_sub_f32_e32 v21, v21, v49
	v_sub_f32_e32 v22, v51, v22
	;; [unrolled: 1-line block ×3, first 2 shown]
	v_add_f32_e32 v51, v15, v14
	v_add_f32_e32 v34, v77, v34
	v_sub_f32_e32 v54, v54, v35
	v_fmac_f32_e32 v90, 0x3eaf1d44, v35
	v_mul_f32_e32 v35, 0x3f248dbb, v23
	v_sub_f32_e32 v26, v26, v27
	v_fmac_f32_e32 v91, 0x3eaf1d44, v27
	v_mul_f32_e32 v27, 0x3f248dbb, v19
	v_fmac_f32_e32 v92, 0xbf708fb2, v44
	v_fmamk_f32 v44, v82, 0x3f441b7d, v0
	v_fmac_f32_e32 v93, 0xbf708fb2, v46
	v_fmamk_f32 v46, v83, 0x3f441b7d, v2
	v_add_f32_e32 v96, v78, v96
	v_fmac_f32_e32 v89, 0xbf708fb2, v60
	v_add_f32_e32 v60, v63, v29
	v_add_f32_e32 v87, v41, v38
	v_sub_f32_e32 v38, v41, v38
	v_add_f32_e32 v34, v59, v34
	v_fmac_f32_e32 v99, 0x3eaf1d44, v50
	v_mul_f32_e32 v50, 0xbf248dbb, v49
	v_add_f32_e32 v39, v39, v58
	v_fmamk_f32 v58, v51, 0x3f441b7d, v0
	v_fmac_f32_e32 v35, 0x3f7c1c5c, v40
	v_fmac_f32_e32 v27, 0x3f7c1c5c, v21
	;; [unrolled: 1-line block ×4, first 2 shown]
	v_add_f32_e32 v28, v28, v96
	v_sub_f32_e32 v60, v60, v31
	v_sub_f32_e32 v41, v15, v14
	v_add_f32_e32 v53, v1, v3
	v_fmac_f32_e32 v50, 0x3f7c1c5c, v19
	v_fmac_f32_e32 v58, 0x3e31d0d4, v82
	v_fmac_f32_e32 v35, 0x3f5db3d7, v22
	v_fmac_f32_e32 v27, 0x3f5db3d7, v38
	v_fmac_f32_e32 v44, -0.5, v86
	v_fmac_f32_e32 v46, -0.5, v87
	v_add_f32_e32 v17, v17, v34
	v_fmac_f32_e32 v102, 0xbf708fb2, v42
	v_mul_f32_e32 v42, 0x3f5db3d7, v60
	v_fmac_f32_e32 v105, 0x3f5db3d7, v60
	v_add_f32_e32 v16, v16, v28
	v_fmamk_f32 v59, v61, 0x3f441b7d, v11
	v_fmamk_f32 v96, v62, 0x3f441b7d, v13
	v_fmac_f32_e32 v56, 0x3eaf1d44, v52
	v_fmamk_f32 v52, v79, 0x3f441b7d, v11
	v_fmac_f32_e32 v50, 0xbf5db3d7, v38
	v_fmac_f32_e32 v58, -0.5, v86
	v_fmac_f32_e32 v35, 0x3eaf1d44, v41
	v_fmac_f32_e32 v27, 0x3eaf1d44, v49
	;; [unrolled: 1-line block ×4, first 2 shown]
	v_add_f32_e32 v17, v11, v17
	v_fmac_f32_e32 v11, 0x3f441b7d, v75
	v_fmac_f32_e32 v80, 0x3eaf1d44, v55
	v_fmamk_f32 v55, v81, 0x3f441b7d, v13
	v_fmac_f32_e32 v47, 0x3eaf1d44, v31
	v_fma_f32 v31, -2.0, v42, v105
	v_add_f32_e32 v42, v13, v16
	v_fmac_f32_e32 v13, 0x3f441b7d, v76
	v_fmac_f32_e32 v59, 0x3e31d0d4, v75
	;; [unrolled: 1-line block ×6, first 2 shown]
	v_add_f32_e32 v16, v27, v44
	v_sub_f32_e32 v44, v46, v35
	v_fmac_f32_e32 v11, 0x3e31d0d4, v79
	v_fmac_f32_e32 v55, 0x3e31d0d4, v62
	;; [unrolled: 1-line block ×4, first 2 shown]
	v_mul_f32_e32 v25, 0xbf248dbb, v41
	v_add_f32_e32 v18, v18, v20
	v_fmamk_f32 v20, v53, 0x3f441b7d, v2
	v_fmac_f32_e32 v59, -0.5, v77
	v_fmac_f32_e32 v96, -0.5, v78
	;; [unrolled: 1-line block ×4, first 2 shown]
	v_fma_f32 v77, 2.0, v35, v44
	v_add_f32_e32 v35, v50, v58
	v_add_f32_e32 v58, v84, v82
	v_fmac_f32_e32 v88, 0xbf708fb2, v57
	v_fmac_f32_e32 v55, -0.5, v78
	v_fmac_f32_e32 v13, -0.5, v78
	v_add_f32_e32 v78, v85, v83
	v_fmac_f32_e32 v25, 0x3f7c1c5c, v23
	v_fmac_f32_e32 v20, 0x3e31d0d4, v83
	v_fmac_f32_e32 v96, 0xbf708fb2, v81
	v_add_f32_e32 v81, v86, v58
	v_add_f32_e32 v28, v80, v88
	;; [unrolled: 1-line block ×3, first 2 shown]
	v_fmac_f32_e32 v25, 0xbf5db3d7, v22
	v_fmac_f32_e32 v20, -0.5, v87
	v_add_f32_e32 v15, v15, v81
	v_add_f32_e32 v57, v32, v43
	v_add_f32_e32 v1, v1, v88
	v_fmac_f32_e32 v25, 0x3eaf1d44, v40
	v_fmac_f32_e32 v20, 0xbf708fb2, v85
	v_add_f32_e32 v14, v14, v15
	v_fmac_f32_e32 v103, 0x3eaf1d44, v32
	v_add_f32_e32 v1, v3, v1
	v_fmac_f32_e32 v59, 0xbf708fb2, v79
	v_fma_f32 v32, -2.0, v80, v28
	v_add_f32_e32 v79, v41, v23
	v_sub_f32_e32 v80, v20, v25
	v_add_f32_e32 v20, v49, v19
	v_add_f32_e32 v88, v0, v86
	v_mul_f32_e32 v15, 0x3f7c1c5c, v41
	v_mul_f32_e32 v41, 0x3f7c1c5c, v49
	v_add_f32_e32 v14, v0, v14
	v_fmac_f32_e32 v0, 0x3f441b7d, v84
	v_fmac_f32_e32 v97, 0x3eaf1d44, v43
	v_sub_f32_e32 v43, v89, v56
	v_add_f32_e32 v89, v2, v87
	v_add_f32_e32 v1, v2, v1
	v_fmac_f32_e32 v2, 0x3f441b7d, v85
	v_sub_f32_e32 v20, v20, v21
	v_fma_f32 v21, 0xbf248dbb, v21, -v41
	v_fmac_f32_e32 v0, 0x3e31d0d4, v51
	v_fma_f32 v15, 0xbf248dbb, v40, -v15
	v_fmac_f32_e32 v2, 0x3e31d0d4, v53
	v_sub_f32_e32 v57, v57, v30
	v_fmac_f32_e32 v21, 0x3f5db3d7, v38
	v_fmac_f32_e32 v0, -0.5, v86
	v_fmac_f32_e32 v48, 0x3eaf1d44, v29
	v_fmac_f32_e32 v11, 0xbf708fb2, v61
	v_add_f32_e32 v3, v51, v58
	v_fmac_f32_e32 v15, 0x3f5db3d7, v22
	v_fmac_f32_e32 v2, -0.5, v87
	v_fmac_f32_e32 v104, 0x3eaf1d44, v63
	v_fmac_f32_e32 v52, 0xbf708fb2, v75
	;; [unrolled: 1-line block ×6, first 2 shown]
	v_mul_f32_e32 v26, 0x3f5db3d7, v26
	v_mul_f32_e32 v33, 0x3f5db3d7, v57
	v_fmac_f32_e32 v101, 0x3eaf1d44, v30
	v_fmac_f32_e32 v55, 0xbf708fb2, v76
	;; [unrolled: 1-line block ×3, first 2 shown]
	v_add_f32_e32 v29, v91, v92
	v_fmac_f32_e32 v13, 0xbf708fb2, v62
	v_add_f32_e32 v11, v48, v11
	v_fmac_f32_e32 v88, -0.5, v3
	v_fmac_f32_e32 v15, 0x3eaf1d44, v23
	v_fmac_f32_e32 v2, 0xbf708fb2, v83
	v_add_f32_e32 v10, v10, v39
	v_add_f32_e32 v39, v12, v18
	;; [unrolled: 1-line block ×6, first 2 shown]
	v_fma_f32 v26, -2.0, v26, v94
	v_sub_f32_e32 v52, v55, v101
	v_fma_f32 v55, 2.0, v33, v45
	v_fma_f32 v33, -2.0, v91, v29
	v_sub_f32_e32 v75, v13, v97
	v_fma_f32 v13, -2.0, v27, v16
	v_fma_f32 v27, -2.0, v48, v11
	v_add_f32_e32 v49, v53, v78
	v_mul_f32_e32 v3, 0x3f5db3d7, v20
	v_fmac_f32_e32 v88, 0x3f5db3d7, v20
	v_sub_f32_e32 v2, v2, v15
	v_fma_f32 v61, -2.0, v104, v18
	v_fma_f32 v47, -2.0, v47, v30
	;; [unrolled: 1-line block ×3, first 2 shown]
	v_add_nc_u32_e32 v51, 0xc00, v8
	v_add_nc_u32_e32 v53, 0xe00, v8
	v_fma_f32 v19, -2.0, v21, v0
	v_add_nc_u32_e32 v58, 0x1000, v8
	v_sub_f32_e32 v79, v79, v40
	v_fma_f32 v50, -2.0, v50, v35
	v_fmac_f32_e32 v89, -0.5, v49
	v_fma_f32 v40, 2.0, v25, v80
	v_fma_f32 v3, -2.0, v3, v88
	v_fma_f32 v49, 2.0, v15, v2
	s_barrier
	buffer_gl0_inv
	ds_write2_b32 v5, v10, v28 offset1:51
	ds_write2_b32 v5, v29, v94 offset0:102 offset1:153
	ds_write2_b32 v5, v12, v34 offset0:204 offset1:255
	;; [unrolled: 1-line block ×12, first 2 shown]
	ds_write_b32 v8, v13 offset:5304
	s_waitcnt lgkmcnt(0)
	s_barrier
	buffer_gl0_inv
	ds_read2_b32 v[10:11], v5 offset1:51
	ds_read2_b32 v[12:13], v66 offset0:152 offset1:203
	ds_read2_b32 v[14:15], v65 offset0:150 offset1:201
	;; [unrolled: 1-line block ×12, first 2 shown]
	ds_read_b32 v38, v5 offset:5304
	v_sub_f32_e32 v60, v102, v98
	v_fmac_f32_e32 v95, 0xbf5db3d7, v54
	v_mul_f32_e32 v54, 0x3f5db3d7, v54
	v_sub_f32_e32 v57, v93, v90
	v_sub_f32_e32 v59, v96, v103
	v_mul_f32_e32 v81, 0x3f5db3d7, v79
	v_fmac_f32_e32 v89, 0xbf5db3d7, v79
	v_fma_f32 v63, 2.0, v98, v60
	v_fma_f32 v54, 2.0, v54, v95
	;; [unrolled: 1-line block ×8, first 2 shown]
	s_waitcnt lgkmcnt(0)
	s_barrier
	buffer_gl0_inv
	ds_write2_b32 v5, v39, v43 offset1:51
	ds_write2_b32 v5, v57, v95 offset0:102 offset1:153
	ds_write2_b32 v5, v60, v63 offset0:204 offset1:255
	;; [unrolled: 1-line block ×12, first 2 shown]
	ds_write_b32 v8, v77 offset:5304
	s_waitcnt lgkmcnt(0)
	s_barrier
	buffer_gl0_inv
	s_and_saveexec_b32 s0, vcc_lo
	s_cbranch_execz .LBB0_19
; %bb.18:
	v_lshlrev_b32_e32 v8, 1, v36
	ds_read_b32 v100, v5 offset:5304
	v_add_nc_u32_e32 v94, 0xc00, v5
	v_add_nc_u32_e32 v86, 0x1000, v5
	;; [unrolled: 1-line block ×3, first 2 shown]
	v_lshlrev_b64 v[0:1], 3, v[8:9]
	v_lshlrev_b32_e32 v8, 1, v37
	v_add_nc_u32_e32 v90, 0xe00, v5
	ds_read2_b32 v[76:77], v5 offset0:102 offset1:153
	v_add_nc_u32_e32 v92, 0x600, v5
	ds_read2_b32 v[78:79], v5 offset1:51
	v_add_co_u32 v0, vcc_lo, s8, v0
	v_add_co_ci_u32_e32 v1, vcc_lo, s9, v1, vcc_lo
	v_lshlrev_b64 v[39:40], 3, v[8:9]
	v_add_co_u32 v0, vcc_lo, 0x800, v0
	v_add_co_ci_u32_e32 v1, vcc_lo, 0, v1, vcc_lo
	v_mul_hi_u32 v96, 0x4763d59d, v70
	v_add_co_u32 v8, vcc_lo, s8, v39
	v_add_co_ci_u32_e32 v40, vcc_lo, s9, v40, vcc_lo
	global_load_dwordx4 v[0:3], v[0:1], off offset:1488
	v_add_co_u32 v39, vcc_lo, 0x800, v8
	v_lshlrev_b32_e32 v8, 1, v74
	v_add_co_ci_u32_e32 v40, vcc_lo, 0, v40, vcc_lo
	v_mul_hi_u32 v97, 0x4763d59d, v37
	v_mul_hi_u32 v98, 0x4763d59d, v36
	v_lshlrev_b64 v[43:44], 3, v[8:9]
	global_load_dwordx4 v[39:42], v[39:40], off offset:1488
	v_lshlrev_b32_e32 v8, 1, v70
	v_add_co_u32 v43, vcc_lo, s8, v43
	v_add_co_ci_u32_e32 v44, vcc_lo, s9, v44, vcc_lo
	v_lshlrev_b64 v[47:48], 3, v[8:9]
	v_add_co_u32 v43, vcc_lo, 0x800, v43
	v_add_co_ci_u32_e32 v44, vcc_lo, 0, v44, vcc_lo
	v_lshrrev_b32_e32 v103, 7, v97
	v_add_co_u32 v8, vcc_lo, s8, v47
	v_add_co_ci_u32_e32 v48, vcc_lo, s9, v48, vcc_lo
	global_load_dwordx4 v[43:46], v[43:44], off offset:1488
	v_add_co_u32 v47, vcc_lo, 0x800, v8
	v_lshlrev_b32_e32 v8, 1, v71
	v_add_co_ci_u32_e32 v48, vcc_lo, 0, v48, vcc_lo
	v_mul_hi_u32 v71, 0x4763d59d, v71
	v_lshrrev_b32_e32 v104, 7, v98
	v_lshlrev_b64 v[51:52], 3, v[8:9]
	global_load_dwordx4 v[47:50], v[47:48], off offset:1488
	v_add_co_u32 v8, vcc_lo, s8, v51
	v_add_co_ci_u32_e32 v52, vcc_lo, s9, v52, vcc_lo
	v_add_co_u32 v51, vcc_lo, 0x800, v8
	v_lshlrev_b32_e32 v8, 1, v73
	v_add_co_ci_u32_e32 v52, vcc_lo, 0, v52, vcc_lo
	v_lshlrev_b64 v[55:56], 3, v[8:9]
	global_load_dwordx4 v[51:54], v[51:52], off offset:1488
	v_add_co_u32 v8, vcc_lo, s8, v55
	v_add_co_ci_u32_e32 v56, vcc_lo, s9, v56, vcc_lo
	v_add_co_u32 v55, vcc_lo, 0x800, v8
	v_lshlrev_b32_e32 v8, 1, v72
	v_add_co_ci_u32_e32 v56, vcc_lo, 0, v56, vcc_lo
	;; [unrolled: 7-line block ×4, first 2 shown]
	v_lshlrev_b64 v[67:68], 3, v[8:9]
	global_load_dwordx4 v[63:66], v[63:64], off offset:1488
	v_add_co_u32 v8, vcc_lo, s8, v67
	v_add_co_ci_u32_e32 v68, vcc_lo, s9, v68, vcc_lo
	v_add_co_u32 v67, vcc_lo, 0x800, v8
	v_add_co_ci_u32_e32 v68, vcc_lo, 0, v68, vcc_lo
	v_add_nc_u32_e32 v8, 0x400, v5
	v_add_co_u32 v101, vcc_lo, s2, v6
	global_load_dwordx4 v[72:75], v[67:68], off offset:1488
	ds_read2_b32 v[67:68], v5 offset0:204 offset1:255
	v_mov_b32_e32 v5, v9
	v_add_co_ci_u32_e32 v102, vcc_lo, s3, v7, vcc_lo
	ds_read2_b32 v[6:7], v8 offset0:152 offset1:203
	ds_read2_b32 v[69:70], v94 offset0:48 offset1:99
	;; [unrolled: 1-line block ×10, first 2 shown]
	v_lshrrev_b32_e32 v8, 7, v71
	v_lshlrev_b64 v[4:5], 3, v[4:5]
	v_lshrrev_b32_e32 v71, 7, v96
	v_mul_u32_u24_e32 v8, 0x396, v8
	v_add_co_u32 v4, vcc_lo, v101, v4
	v_add_co_ci_u32_e32 v5, vcc_lo, v102, v5, vcc_lo
	v_lshlrev_b64 v[98:99], 3, v[8:9]
	v_add_co_u32 v96, vcc_lo, 0x800, v4
	v_add_co_ci_u32_e32 v97, vcc_lo, 0, v5, vcc_lo
	v_mul_u32_u24_e32 v8, 0x396, v71
	s_waitcnt vmcnt(8) lgkmcnt(13)
	v_mul_f32_e32 v105, v2, v100
	v_mul_f32_e32 v100, v3, v100
	s_waitcnt lgkmcnt(8)
	v_mul_f32_e32 v106, v0, v70
	v_mul_f32_e32 v70, v1, v70
	v_fmac_f32_e32 v105, v38, v3
	v_fma_f32 v100, v38, v2, -v100
	v_add_co_u32 v2, vcc_lo, 0x1800, v4
	v_add_co_ci_u32_e32 v3, vcc_lo, 0, v5, vcc_lo
	v_fma_f32 v107, v35, v0, -v70
	v_add_co_u32 v0, vcc_lo, 0x1000, v4
	v_fmac_f32_e32 v106, v35, v1
	v_lshlrev_b64 v[70:71], 3, v[8:9]
	v_mad_u32_u24 v8, 0x396, v103, v37
	s_waitcnt vmcnt(7)
	v_mul_f32_e32 v35, v40, v69
	v_mul_f32_e32 v103, v39, v69
	v_add_co_ci_u32_e32 v1, vcc_lo, 0, v5, vcc_lo
	v_add_co_u32 v37, vcc_lo, v4, v98
	v_add_co_ci_u32_e32 v38, vcc_lo, v5, v99, vcc_lo
	v_lshlrev_b64 v[98:99], 3, v[8:9]
	v_mad_u32_u24 v8, 0x396, v104, v36
	v_fma_f32 v104, v34, v39, -v35
	v_fmac_f32_e32 v103, v34, v40
	v_add_co_u32 v34, vcc_lo, 0x2000, v4
	s_waitcnt lgkmcnt(7)
	v_mul_f32_e32 v36, v42, v81
	v_add_co_ci_u32_e32 v35, vcc_lo, 0, v5, vcc_lo
	v_mul_f32_e32 v81, v41, v81
	v_add_co_u32 v39, vcc_lo, 0x1000, v37
	v_add_co_ci_u32_e32 v40, vcc_lo, 0, v38, vcc_lo
	v_fma_f32 v36, v33, v41, -v36
	v_add_co_u32 v41, vcc_lo, v4, v70
	v_fmac_f32_e32 v81, v33, v42
	v_add_co_ci_u32_e32 v42, vcc_lo, v5, v71, vcc_lo
	s_waitcnt vmcnt(6)
	v_mul_f32_e32 v33, v46, v80
	v_mul_f32_e32 v71, v45, v80
	s_waitcnt lgkmcnt(5)
	v_mul_f32_e32 v80, v44, v85
	v_add_co_u32 v69, vcc_lo, v101, v98
	v_mul_f32_e32 v85, v43, v85
	v_fma_f32 v33, v32, v45, -v33
	v_add_f32_e32 v45, v107, v100
	v_fma_f32 v98, v31, v43, -v80
	v_add_f32_e32 v80, v12, v107
	v_fmac_f32_e32 v71, v32, v46
	v_add_f32_e32 v32, v106, v105
	v_fmac_f32_e32 v85, v31, v44
	v_fma_f32 v31, -0.5, v45, v12
	v_add_f32_e32 v45, v80, v100
	s_waitcnt vmcnt(5) lgkmcnt(4)
	v_mul_f32_e32 v80, v50, v87
	v_add_co_ci_u32_e32 v70, vcc_lo, v102, v99, vcc_lo
	v_add_f32_e32 v46, v6, v106
	v_fma_f32 v32, -0.5, v32, v6
	v_mul_f32_e32 v6, v48, v84
	v_mul_f32_e32 v12, v47, v84
	v_sub_f32_e32 v84, v107, v100
	v_sub_f32_e32 v99, v106, v105
	v_mul_f32_e32 v100, v49, v87
	v_fma_f32 v106, v27, v49, -v80
	v_add_f32_e32 v49, v103, v83
	v_add_f32_e32 v80, v29, v104
	;; [unrolled: 1-line block ×3, first 2 shown]
	v_sub_f32_e32 v105, v104, v36
	v_fmac_f32_e32 v100, v27, v50
	v_add_f32_e32 v27, v104, v36
	v_add_f32_e32 v50, v81, v49
	;; [unrolled: 1-line block ×4, first 2 shown]
	v_fma_f32 v6, v30, v47, -v6
	v_fmac_f32_e32 v12, v30, v48
	v_add_f32_e32 v30, v103, v81
	v_sub_f32_e32 v107, v103, v81
	v_fmamk_f32 v48, v84, 0xbf5db3d7, v32
	v_fmac_f32_e32 v32, 0x3f5db3d7, v84
	v_fma_f32 v29, -0.5, v27, v29
	v_add_f32_e32 v27, v85, v71
	v_add_f32_e32 v84, v85, v82
	v_fma_f32 v80, -0.5, v36, v28
	v_add_f32_e32 v36, v28, v98
	s_waitcnt vmcnt(4)
	v_mul_f32_e32 v103, v54, v86
	v_fmamk_f32 v47, v99, 0x3f5db3d7, v31
	v_fmac_f32_e32 v31, 0xbf5db3d7, v99
	v_fma_f32 v30, -0.5, v30, v83
	v_fma_f32 v81, -0.5, v27, v82
	v_mul_f32_e32 v99, v53, v86
	v_sub_f32_e32 v98, v98, v33
	v_sub_f32_e32 v104, v85, v71
	v_add_f32_e32 v85, v71, v84
	v_add_f32_e32 v84, v36, v33
	s_waitcnt lgkmcnt(3)
	v_mul_f32_e32 v33, v51, v89
	v_mul_f32_e32 v36, v52, v89
	v_fma_f32 v71, v26, v53, -v103
	v_add_f32_e32 v53, v12, v100
	v_fmamk_f32 v87, v105, 0x3f5db3d7, v30
	v_fmac_f32_e32 v30, 0xbf5db3d7, v105
	v_fmac_f32_e32 v99, v26, v54
	v_sub_f32_e32 v89, v6, v106
	v_fmac_f32_e32 v33, v25, v52
	v_fma_f32 v36, v25, v51, -v36
	v_add_f32_e32 v51, v6, v106
	v_sub_f32_e32 v103, v12, v100
	v_add_f32_e32 v12, v12, v68
	v_add_f32_e32 v6, v23, v6
	s_waitcnt vmcnt(3)
	v_mul_f32_e32 v105, v56, v88
	v_mul_f32_e32 v88, v55, v88
	v_fmamk_f32 v26, v98, 0x3f5db3d7, v81
	v_fmac_f32_e32 v81, 0xbf5db3d7, v98
	s_waitcnt lgkmcnt(2)
	v_mul_f32_e32 v98, v58, v91
	v_fma_f32 v52, -0.5, v53, v68
	v_mul_f32_e32 v68, v57, v91
	v_add_f32_e32 v54, v100, v12
	v_add_f32_e32 v53, v6, v106
	;; [unrolled: 1-line block ×3, first 2 shown]
	v_sub_f32_e32 v12, v36, v71
	v_fma_f32 v91, v24, v55, -v105
	v_fmac_f32_e32 v88, v24, v56
	v_add_f32_e32 v55, v36, v71
	v_sub_f32_e32 v100, v33, v99
	v_add_f32_e32 v33, v67, v33
	v_add_f32_e32 v36, v22, v36
	v_fma_f32 v98, v21, v57, -v98
	v_fmac_f32_e32 v68, v21, v58
	s_waitcnt vmcnt(2) lgkmcnt(1)
	v_mul_f32_e32 v57, v60, v93
	v_mul_f32_e32 v58, v62, v90
	;; [unrolled: 1-line block ×4, first 2 shown]
	v_fmamk_f32 v24, v89, 0x3f5db3d7, v52
	v_fmac_f32_e32 v52, 0xbf5db3d7, v89
	v_fma_f32 v56, -0.5, v6, v67
	v_fma_f32 v55, -0.5, v55, v22
	v_add_f32_e32 v22, v33, v99
	v_add_f32_e32 v21, v36, v71
	v_sub_f32_e32 v33, v91, v98
	v_add_f32_e32 v6, v88, v68
	v_add_f32_e32 v36, v91, v98
	v_sub_f32_e32 v67, v88, v68
	v_add_f32_e32 v71, v88, v77
	v_add_f32_e32 v88, v17, v91
	v_fma_f32 v89, v19, v59, -v57
	v_fma_f32 v61, v20, v61, -v58
	v_fmac_f32_e32 v90, v20, v62
	s_waitcnt vmcnt(1)
	v_mul_f32_e32 v62, v64, v92
	s_waitcnt lgkmcnt(0)
	v_mul_f32_e32 v91, v66, v95
	v_mul_f32_e32 v92, v63, v92
	;; [unrolled: 1-line block ×3, first 2 shown]
	v_fmac_f32_e32 v93, v19, v60
	v_add_f32_e32 v60, v68, v71
	v_add_f32_e32 v68, v89, v61
	v_fma_f32 v63, v18, v63, -v62
	v_fma_f32 v65, v15, v65, -v91
	v_fmac_f32_e32 v92, v18, v64
	v_fmac_f32_e32 v95, v15, v66
	s_waitcnt vmcnt(0)
	v_mul_f32_e32 v15, v73, v7
	v_mul_f32_e32 v18, v75, v94
	;; [unrolled: 1-line block ×4, first 2 shown]
	v_fma_f32 v57, -0.5, v36, v17
	v_add_co_u32 v43, vcc_lo, 0x2000, v37
	v_fmamk_f32 v20, v12, 0xbf5db3d7, v56
	v_fmac_f32_e32 v56, 0x3f5db3d7, v12
	v_fma_f32 v58, -0.5, v6, v77
	v_add_f32_e32 v59, v88, v98
	v_add_f32_e32 v12, v93, v90
	;; [unrolled: 1-line block ×4, first 2 shown]
	v_fma_f32 v16, -0.5, v68, v16
	v_add_f32_e32 v68, v63, v65
	v_fma_f32 v72, v13, v72, -v15
	v_fma_f32 v18, v14, v74, -v18
	v_fmac_f32_e32 v64, v13, v73
	v_fmac_f32_e32 v66, v14, v75
	v_add_co_ci_u32_e32 v44, vcc_lo, 0, v38, vcc_lo
	v_fmamk_f32 v19, v100, 0x3f5db3d7, v55
	v_fmac_f32_e32 v55, 0xbf5db3d7, v100
	v_fmamk_f32 v6, v67, 0xbf5db3d7, v57
	v_fmac_f32_e32 v57, 0x3f5db3d7, v67
	v_add_f32_e32 v67, v92, v95
	v_sub_f32_e32 v36, v89, v61
	v_fmamk_f32 v7, v33, 0x3f5db3d7, v58
	v_fmac_f32_e32 v58, 0xbf5db3d7, v33
	v_fma_f32 v17, -0.5, v12, v76
	v_add_f32_e32 v62, v90, v77
	v_sub_f32_e32 v33, v63, v65
	v_add_f32_e32 v77, v92, v79
	v_add_f32_e32 v63, v11, v63
	global_store_dwordx2 v[4:5], v[59:60], off offset:1224
	global_store_dwordx2 v[43:44], v[55:56], off offset:784
	v_fma_f32 v14, -0.5, v68, v11
	v_add_f32_e32 v11, v64, v66
	v_add_f32_e32 v55, v72, v18
	v_sub_f32_e32 v71, v93, v90
	v_add_f32_e32 v56, v64, v78
	v_add_f32_e32 v60, v10, v72
	;; [unrolled: 1-line block ×3, first 2 shown]
	v_sub_f32_e32 v76, v92, v95
	v_fma_f32 v15, -0.5, v67, v79
	v_fmamk_f32 v13, v36, 0x3f5db3d7, v17
	v_fmac_f32_e32 v17, 0xbf5db3d7, v36
	v_add_f32_e32 v44, v95, v77
	v_add_f32_e32 v43, v63, v65
	v_sub_f32_e32 v36, v72, v18
	v_sub_f32_e32 v59, v64, v66
	v_fma_f32 v11, -0.5, v11, v78
	v_fma_f32 v10, -0.5, v55, v10
	v_add_co_u32 v82, vcc_lo, 0x1000, v41
	v_fma_f32 v51, -0.5, v51, v23
	v_fmamk_f32 v12, v71, 0xbf5db3d7, v16
	v_fmac_f32_e32 v16, 0x3f5db3d7, v71
	v_add_f32_e32 v56, v66, v56
	v_add_f32_e32 v55, v60, v18
	v_add_co_ci_u32_e32 v83, vcc_lo, 0, v42, vcc_lo
	global_store_dwordx2 v[4:5], v[61:62], off offset:816
	global_store_dwordx2 v[0:1], v[57:58], off offset:800
	global_store_dwordx2 v[34:35], v[6:7], off offset:376
	v_fmamk_f32 v7, v33, 0x3f5db3d7, v15
	v_fmamk_f32 v6, v76, 0xbf5db3d7, v14
	v_fmac_f32_e32 v15, 0xbf5db3d7, v33
	v_fmac_f32_e32 v14, 0x3f5db3d7, v76
	v_add_co_u32 v27, vcc_lo, 0x2000, v41
	global_store_dwordx2 v[4:5], v[43:44], off offset:408
	global_store_dwordx2 v[0:1], v[16:17], off offset:392
	v_fmamk_f32 v17, v36, 0x3f5db3d7, v11
	v_fmamk_f32 v16, v59, 0xbf5db3d7, v10
	v_fmac_f32_e32 v11, 0xbf5db3d7, v36
	v_fmac_f32_e32 v10, 0x3f5db3d7, v59
	v_add_co_ci_u32_e32 v28, vcc_lo, 0, v42, vcc_lo
	v_fmamk_f32 v25, v104, 0xbf5db3d7, v80
	v_fmac_f32_e32 v80, 0x3f5db3d7, v104
	v_fmamk_f32 v23, v103, 0xbf5db3d7, v51
	v_fmac_f32_e32 v51, 0x3f5db3d7, v103
	global_store_dwordx2 v[2:3], v[12:13], off offset:2016
	global_store_dwordx2 v[4:5], v[55:56], off
	global_store_dwordx2 v[96:97], v[14:15], off offset:2032
	global_store_dwordx2 v[2:3], v[6:7], off offset:1608
	;; [unrolled: 1-line block ×12, first 2 shown]
	global_store_dwordx2 v[69:70], v[49:50], off
	v_lshlrev_b64 v[0:1], 3, v[8:9]
	v_add_co_u32 v2, vcc_lo, 0x800, v69
	v_add_co_ci_u32_e32 v3, vcc_lo, 0, v70, vcc_lo
	v_fmamk_f32 v86, v107, 0xbf5db3d7, v29
	v_add_co_u32 v0, vcc_lo, v101, v0
	v_add_co_ci_u32_e32 v1, vcc_lo, v102, v1, vcc_lo
	v_add_co_u32 v4, vcc_lo, 0x1800, v69
	v_add_co_ci_u32_e32 v5, vcc_lo, 0, v70, vcc_lo
	v_add_co_u32 v6, vcc_lo, 0x800, v0
	v_fmac_f32_e32 v29, 0x3f5db3d7, v107
	v_add_co_ci_u32_e32 v7, vcc_lo, 0, v1, vcc_lo
	v_add_co_u32 v8, vcc_lo, 0x1800, v0
	v_add_co_ci_u32_e32 v9, vcc_lo, 0, v1, vcc_lo
	global_store_dwordx2 v[2:3], v[29:30], off offset:1624
	global_store_dwordx2 v[4:5], v[86:87], off offset:1200
	global_store_dwordx2 v[0:1], v[45:46], off
	global_store_dwordx2 v[6:7], v[47:48], off offset:1624
	global_store_dwordx2 v[8:9], v[31:32], off offset:1200
.LBB0_19:
	s_endpgm
	.section	.rodata,"a",@progbits
	.p2align	6, 0x0
	.amdhsa_kernel fft_rtc_fwd_len1377_factors_17_3_9_3_wgs_51_tpt_51_halfLds_sp_ip_CI_unitstride_sbrr_dirReg
		.amdhsa_group_segment_fixed_size 0
		.amdhsa_private_segment_fixed_size 0
		.amdhsa_kernarg_size 88
		.amdhsa_user_sgpr_count 6
		.amdhsa_user_sgpr_private_segment_buffer 1
		.amdhsa_user_sgpr_dispatch_ptr 0
		.amdhsa_user_sgpr_queue_ptr 0
		.amdhsa_user_sgpr_kernarg_segment_ptr 1
		.amdhsa_user_sgpr_dispatch_id 0
		.amdhsa_user_sgpr_flat_scratch_init 0
		.amdhsa_user_sgpr_private_segment_size 0
		.amdhsa_wavefront_size32 1
		.amdhsa_uses_dynamic_stack 0
		.amdhsa_system_sgpr_private_segment_wavefront_offset 0
		.amdhsa_system_sgpr_workgroup_id_x 1
		.amdhsa_system_sgpr_workgroup_id_y 0
		.amdhsa_system_sgpr_workgroup_id_z 0
		.amdhsa_system_sgpr_workgroup_info 0
		.amdhsa_system_vgpr_workitem_id 0
		.amdhsa_next_free_vgpr 112
		.amdhsa_next_free_sgpr 21
		.amdhsa_reserve_vcc 1
		.amdhsa_reserve_flat_scratch 0
		.amdhsa_float_round_mode_32 0
		.amdhsa_float_round_mode_16_64 0
		.amdhsa_float_denorm_mode_32 3
		.amdhsa_float_denorm_mode_16_64 3
		.amdhsa_dx10_clamp 1
		.amdhsa_ieee_mode 1
		.amdhsa_fp16_overflow 0
		.amdhsa_workgroup_processor_mode 1
		.amdhsa_memory_ordered 1
		.amdhsa_forward_progress 0
		.amdhsa_shared_vgpr_count 0
		.amdhsa_exception_fp_ieee_invalid_op 0
		.amdhsa_exception_fp_denorm_src 0
		.amdhsa_exception_fp_ieee_div_zero 0
		.amdhsa_exception_fp_ieee_overflow 0
		.amdhsa_exception_fp_ieee_underflow 0
		.amdhsa_exception_fp_ieee_inexact 0
		.amdhsa_exception_int_div_zero 0
	.end_amdhsa_kernel
	.text
.Lfunc_end0:
	.size	fft_rtc_fwd_len1377_factors_17_3_9_3_wgs_51_tpt_51_halfLds_sp_ip_CI_unitstride_sbrr_dirReg, .Lfunc_end0-fft_rtc_fwd_len1377_factors_17_3_9_3_wgs_51_tpt_51_halfLds_sp_ip_CI_unitstride_sbrr_dirReg
                                        ; -- End function
	.section	.AMDGPU.csdata,"",@progbits
; Kernel info:
; codeLenInByte = 19668
; NumSgprs: 23
; NumVgprs: 112
; ScratchSize: 0
; MemoryBound: 0
; FloatMode: 240
; IeeeMode: 1
; LDSByteSize: 0 bytes/workgroup (compile time only)
; SGPRBlocks: 2
; VGPRBlocks: 13
; NumSGPRsForWavesPerEU: 23
; NumVGPRsForWavesPerEU: 112
; Occupancy: 9
; WaveLimiterHint : 1
; COMPUTE_PGM_RSRC2:SCRATCH_EN: 0
; COMPUTE_PGM_RSRC2:USER_SGPR: 6
; COMPUTE_PGM_RSRC2:TRAP_HANDLER: 0
; COMPUTE_PGM_RSRC2:TGID_X_EN: 1
; COMPUTE_PGM_RSRC2:TGID_Y_EN: 0
; COMPUTE_PGM_RSRC2:TGID_Z_EN: 0
; COMPUTE_PGM_RSRC2:TIDIG_COMP_CNT: 0
	.text
	.p2alignl 6, 3214868480
	.fill 48, 4, 3214868480
	.type	__hip_cuid_4065a41e63a6d9e2,@object ; @__hip_cuid_4065a41e63a6d9e2
	.section	.bss,"aw",@nobits
	.globl	__hip_cuid_4065a41e63a6d9e2
__hip_cuid_4065a41e63a6d9e2:
	.byte	0                               ; 0x0
	.size	__hip_cuid_4065a41e63a6d9e2, 1

	.ident	"AMD clang version 19.0.0git (https://github.com/RadeonOpenCompute/llvm-project roc-6.4.0 25133 c7fe45cf4b819c5991fe208aaa96edf142730f1d)"
	.section	".note.GNU-stack","",@progbits
	.addrsig
	.addrsig_sym __hip_cuid_4065a41e63a6d9e2
	.amdgpu_metadata
---
amdhsa.kernels:
  - .args:
      - .actual_access:  read_only
        .address_space:  global
        .offset:         0
        .size:           8
        .value_kind:     global_buffer
      - .offset:         8
        .size:           8
        .value_kind:     by_value
      - .actual_access:  read_only
        .address_space:  global
        .offset:         16
        .size:           8
        .value_kind:     global_buffer
      - .actual_access:  read_only
        .address_space:  global
        .offset:         24
        .size:           8
        .value_kind:     global_buffer
      - .offset:         32
        .size:           8
        .value_kind:     by_value
      - .actual_access:  read_only
        .address_space:  global
        .offset:         40
        .size:           8
        .value_kind:     global_buffer
      - .actual_access:  read_only
        .address_space:  global
        .offset:         48
        .size:           8
        .value_kind:     global_buffer
      - .offset:         56
        .size:           4
        .value_kind:     by_value
      - .actual_access:  read_only
        .address_space:  global
        .offset:         64
        .size:           8
        .value_kind:     global_buffer
      - .actual_access:  read_only
        .address_space:  global
        .offset:         72
        .size:           8
        .value_kind:     global_buffer
      - .address_space:  global
        .offset:         80
        .size:           8
        .value_kind:     global_buffer
    .group_segment_fixed_size: 0
    .kernarg_segment_align: 8
    .kernarg_segment_size: 88
    .language:       OpenCL C
    .language_version:
      - 2
      - 0
    .max_flat_workgroup_size: 51
    .name:           fft_rtc_fwd_len1377_factors_17_3_9_3_wgs_51_tpt_51_halfLds_sp_ip_CI_unitstride_sbrr_dirReg
    .private_segment_fixed_size: 0
    .sgpr_count:     23
    .sgpr_spill_count: 0
    .symbol:         fft_rtc_fwd_len1377_factors_17_3_9_3_wgs_51_tpt_51_halfLds_sp_ip_CI_unitstride_sbrr_dirReg.kd
    .uniform_work_group_size: 1
    .uses_dynamic_stack: false
    .vgpr_count:     112
    .vgpr_spill_count: 0
    .wavefront_size: 32
    .workgroup_processor_mode: 1
amdhsa.target:   amdgcn-amd-amdhsa--gfx1030
amdhsa.version:
  - 1
  - 2
...

	.end_amdgpu_metadata
